;; amdgpu-corpus repo=ROCm/hip-tests kind=compiled arch=gfx1201 opt=O3
	.amdgcn_target "amdgcn-amd-amdhsa--gfx1201"
	.amdhsa_code_object_version 6
	.text
	.protected	_Z33kernel_cg_group_partition_dynamicjPibS_ ; -- Begin function _Z33kernel_cg_group_partition_dynamicjPibS_
	.globl	_Z33kernel_cg_group_partition_dynamicjPibS_
	.p2align	8
	.type	_Z33kernel_cg_group_partition_dynamicjPibS_,@function
_Z33kernel_cg_group_partition_dynamicjPibS_: ; @_Z33kernel_cg_group_partition_dynamicjPibS_
; %bb.0:
	s_mov_b64 s[2:3], src_shared_base
	s_clause 0x1
	s_load_b64 s[4:5], s[0:1], 0x2c
	s_load_b32 s2, s[0:1], 0x10
	v_bfe_u32 v1, v0, 10, 10
	v_bfe_u32 v2, v0, 20, 10
	s_load_b64 s[8:9], s[0:1], 0x18
	v_and_b32_e32 v0, 0x3ff, v0
	s_wait_kmcnt 0x0
	s_lshr_b32 s6, s4, 16
	s_and_b32 s4, s4, 0xffff
	v_mad_u32_u24 v1, v2, s6, v1
	s_and_b32 s2, 1, s2
	s_and_b32 s5, s5, 0xffff
	s_cmp_lg_u32 0, -1
	s_cselect_b32 s7, 0, 0
	v_mad_co_u64_u32 v[2:3], null, v1, s4, v[0:1]
	s_mul_i32 s4, s6, s4
	s_cselect_b32 s3, s3, 0
	s_cmp_eq_u32 s2, 1
	s_wait_alu 0xfffe
	s_mul_i32 s6, s4, s5
	s_cselect_b32 s23, s9, s3
	s_cselect_b32 s24, s8, s7
	v_dual_mov_b32 v34, v2 :: v_dual_mov_b32 v33, v2
	s_wait_alu 0xfffe
	s_cmp_lt_u32 s6, 2
	s_mov_b32 s3, 0
	s_cbranch_scc1 .LBB0_6
; %bb.1:
	v_ashrrev_i32_e32 v3, 31, v2
	v_mov_b32_e32 v33, v34
	s_mov_b32 s4, s6
	s_delay_alu instid0(VALU_DEP_2) | instskip(NEXT) | instid1(VALU_DEP_1)
	v_lshlrev_b64_e32 v[0:1], 2, v[2:3]
	v_add_co_u32 v0, vcc_lo, s24, v0
	s_delay_alu instid0(VALU_DEP_1)
	v_add_co_ci_u32_e64 v1, null, s23, v1, vcc_lo
.LBB0_2:                                ; =>This Inner Loop Header: Depth=1
	s_wait_alu 0xfffe
	s_lshr_b32 s2, s4, 1
	s_mov_b32 s5, exec_lo
	flat_store_b32 v[0:1], v33
	s_wait_storecnt_dscnt 0x0
	s_barrier_signal -1
	s_barrier_wait -1
	global_inv scope:SCOPE_SE
	s_wait_alu 0xfffe
	v_cmpx_gt_i32_e64 s2, v2
	s_cbranch_execz .LBB0_4
; %bb.3:                                ;   in Loop: Header=BB0_2 Depth=1
	s_lshl_b64 s[8:9], s[2:3], 2
	s_wait_alu 0xfffe
	v_add_co_u32 v3, vcc_lo, v0, s8
	s_wait_alu 0xfffd
	v_add_co_ci_u32_e64 v4, null, s9, v1, vcc_lo
	flat_load_b32 v3, v[3:4]
	s_wait_loadcnt_dscnt 0x0
	v_add_nc_u32_e32 v33, v3, v33
.LBB0_4:                                ;   in Loop: Header=BB0_2 Depth=1
	s_wait_alu 0xfffe
	s_or_b32 exec_lo, exec_lo, s5
	s_cmp_gt_u32 s4, 3
	s_wait_loadcnt 0x0
	s_barrier_signal -1
	s_barrier_wait -1
	global_inv scope:SCOPE_SE
	s_cbranch_scc0 .LBB0_6
; %bb.5:                                ;   in Loop: Header=BB0_2 Depth=1
	s_mov_b32 s4, s2
	s_branch .LBB0_2
.LBB0_6:
	s_load_b32 s22, s[0:1], 0x0
	v_cmp_eq_u32_e64 s2, 0, v2
	s_add_nc_u64 s[4:5], s[0:1], 32
	s_and_saveexec_b32 s25, s2
	s_cbranch_execz .LBB0_375
; %bb.7:
	s_load_b64 s[8:9], s[4:5], 0x50
	v_mbcnt_lo_u32_b32 v32, -1, 0
	v_mov_b32_e32 v0, 0
	v_mov_b32_e32 v1, 0
	s_delay_alu instid0(VALU_DEP_3) | instskip(SKIP_1) | instid1(VALU_DEP_1)
	v_readfirstlane_b32 s3, v32
	s_wait_alu 0xf1ff
	v_cmp_eq_u32_e64 s3, s3, v32
	s_and_saveexec_b32 s7, s3
	s_cbranch_execz .LBB0_13
; %bb.8:
	v_mov_b32_e32 v3, 0
	s_mov_b32 s10, exec_lo
	s_wait_kmcnt 0x0
	global_load_b64 v[6:7], v3, s[8:9] offset:24 scope:SCOPE_SYS
	s_wait_loadcnt 0x0
	global_inv scope:SCOPE_SYS
	s_clause 0x1
	global_load_b64 v[0:1], v3, s[8:9] offset:40
	global_load_b64 v[4:5], v3, s[8:9]
	s_wait_loadcnt 0x1
	v_and_b32_e32 v1, v1, v7
	v_and_b32_e32 v0, v0, v6
	s_delay_alu instid0(VALU_DEP_2) | instskip(NEXT) | instid1(VALU_DEP_2)
	v_mul_lo_u32 v1, 24, v1
	v_mul_lo_u32 v8, 0, v0
	v_mul_hi_u32 v9, 24, v0
	v_mul_lo_u32 v0, 24, v0
	s_delay_alu instid0(VALU_DEP_3) | instskip(SKIP_1) | instid1(VALU_DEP_2)
	v_add_nc_u32_e32 v1, v1, v8
	s_wait_loadcnt 0x0
	v_add_co_u32 v0, vcc_lo, v4, v0
	s_delay_alu instid0(VALU_DEP_2) | instskip(SKIP_1) | instid1(VALU_DEP_1)
	v_add_nc_u32_e32 v1, v1, v9
	s_wait_alu 0xfffd
	v_add_co_ci_u32_e64 v1, null, v5, v1, vcc_lo
	global_load_b64 v[4:5], v[0:1], off scope:SCOPE_SYS
	s_wait_loadcnt 0x0
	global_atomic_cmpswap_b64 v[0:1], v3, v[4:7], s[8:9] offset:24 th:TH_ATOMIC_RETURN scope:SCOPE_SYS
	s_wait_loadcnt 0x0
	global_inv scope:SCOPE_SYS
	v_cmpx_ne_u64_e64 v[0:1], v[6:7]
	s_cbranch_execz .LBB0_12
; %bb.9:
	s_mov_b32 s11, 0
.LBB0_10:                               ; =>This Inner Loop Header: Depth=1
	s_sleep 1
	s_clause 0x1
	global_load_b64 v[4:5], v3, s[8:9] offset:40
	global_load_b64 v[8:9], v3, s[8:9]
	v_dual_mov_b32 v7, v1 :: v_dual_mov_b32 v6, v0
	s_wait_loadcnt 0x1
	s_delay_alu instid0(VALU_DEP_1) | instskip(NEXT) | instid1(VALU_DEP_2)
	v_and_b32_e32 v0, v4, v6
	v_and_b32_e32 v4, v5, v7
	s_wait_loadcnt 0x0
	s_delay_alu instid0(VALU_DEP_2) | instskip(NEXT) | instid1(VALU_DEP_1)
	v_mad_co_u64_u32 v[0:1], null, v0, 24, v[8:9]
	v_mad_co_u64_u32 v[4:5], null, v4, 24, v[1:2]
	s_delay_alu instid0(VALU_DEP_1)
	v_mov_b32_e32 v1, v4
	global_load_b64 v[4:5], v[0:1], off scope:SCOPE_SYS
	s_wait_loadcnt 0x0
	global_atomic_cmpswap_b64 v[0:1], v3, v[4:7], s[8:9] offset:24 th:TH_ATOMIC_RETURN scope:SCOPE_SYS
	s_wait_loadcnt 0x0
	global_inv scope:SCOPE_SYS
	v_cmp_eq_u64_e32 vcc_lo, v[0:1], v[6:7]
	s_or_b32 s11, vcc_lo, s11
	s_delay_alu instid0(SALU_CYCLE_1)
	s_and_not1_b32 exec_lo, exec_lo, s11
	s_cbranch_execnz .LBB0_10
; %bb.11:
	s_or_b32 exec_lo, exec_lo, s11
.LBB0_12:
	s_delay_alu instid0(SALU_CYCLE_1)
	s_or_b32 exec_lo, exec_lo, s10
.LBB0_13:
	s_wait_alu 0xfffe
	s_or_b32 exec_lo, exec_lo, s7
	v_readfirstlane_b32 s10, v0
	v_mov_b32_e32 v8, 0
	v_readfirstlane_b32 s11, v1
	s_mov_b32 s7, exec_lo
	s_wait_kmcnt 0x0
	s_clause 0x1
	global_load_b64 v[9:10], v8, s[8:9] offset:40
	global_load_b128 v[3:6], v8, s[8:9]
	s_wait_loadcnt 0x1
	v_and_b32_e32 v12, s11, v10
	v_and_b32_e32 v11, s10, v9
	s_delay_alu instid0(VALU_DEP_2) | instskip(NEXT) | instid1(VALU_DEP_2)
	v_mul_lo_u32 v0, 24, v12
	v_mul_lo_u32 v1, 0, v11
	v_mul_hi_u32 v7, 24, v11
	v_mul_lo_u32 v9, 24, v11
	s_delay_alu instid0(VALU_DEP_3) | instskip(NEXT) | instid1(VALU_DEP_1)
	v_add_nc_u32_e32 v0, v0, v1
	v_add_nc_u32_e32 v1, v0, v7
	s_wait_loadcnt 0x0
	s_delay_alu instid0(VALU_DEP_3) | instskip(SKIP_1) | instid1(VALU_DEP_2)
	v_add_co_u32 v0, vcc_lo, v3, v9
	s_wait_alu 0xfffd
	v_add_co_ci_u32_e64 v1, null, v4, v1, vcc_lo
	s_and_saveexec_b32 s12, s3
	s_cbranch_execz .LBB0_15
; %bb.14:
	s_wait_alu 0xfffe
	v_dual_mov_b32 v7, s7 :: v_dual_mov_b32 v10, 1
	v_mov_b32_e32 v9, 2
	global_store_b128 v[0:1], v[7:10], off offset:8
.LBB0_15:
	s_or_b32 exec_lo, exec_lo, s12
	v_lshlrev_b64_e32 v[10:11], 12, v[11:12]
	v_lshlrev_b32_e32 v31, 6, v32
	s_mov_b32 s12, 0
	s_delay_alu instid0(SALU_CYCLE_1) | instskip(SKIP_1) | instid1(VALU_DEP_2)
	s_mov_b32 s15, s12
	s_mov_b32 s13, s12
	v_add_co_u32 v5, vcc_lo, v5, v10
	s_wait_alu 0xfffd
	v_add_co_ci_u32_e64 v6, null, v6, v11, vcc_lo
	v_mov_b32_e32 v10, v8
	s_delay_alu instid0(VALU_DEP_3)
	v_add_co_u32 v11, vcc_lo, v5, v31
	s_mov_b32 s14, s12
	v_dual_mov_b32 v7, 33 :: v_dual_mov_b32 v16, s15
	v_dual_mov_b32 v9, v8 :: v_dual_mov_b32 v14, s13
	v_readfirstlane_b32 s16, v5
	v_readfirstlane_b32 s17, v6
	s_wait_alu 0xfffd
	v_add_co_ci_u32_e64 v12, null, 0, v6, vcc_lo
	v_mov_b32_e32 v15, s14
	v_mov_b32_e32 v13, s12
	s_clause 0x3
	global_store_b128 v31, v[7:10], s[16:17]
	global_store_b128 v31, v[13:16], s[16:17] offset:16
	global_store_b128 v31, v[13:16], s[16:17] offset:32
	;; [unrolled: 1-line block ×3, first 2 shown]
	s_and_saveexec_b32 s7, s3
	s_cbranch_execz .LBB0_23
; %bb.16:
	v_mov_b32_e32 v9, 0
	s_mov_b32 s12, exec_lo
	s_clause 0x1
	global_load_b64 v[15:16], v9, s[8:9] offset:32 scope:SCOPE_SYS
	global_load_b64 v[5:6], v9, s[8:9] offset:40
	v_dual_mov_b32 v14, s11 :: v_dual_mov_b32 v13, s10
	s_wait_loadcnt 0x0
	v_and_b32_e32 v6, s11, v6
	v_and_b32_e32 v5, s10, v5
	s_delay_alu instid0(VALU_DEP_2) | instskip(NEXT) | instid1(VALU_DEP_2)
	v_mul_lo_u32 v6, 24, v6
	v_mul_lo_u32 v7, 0, v5
	v_mul_hi_u32 v8, 24, v5
	v_mul_lo_u32 v5, 24, v5
	s_delay_alu instid0(VALU_DEP_3) | instskip(NEXT) | instid1(VALU_DEP_2)
	v_add_nc_u32_e32 v6, v6, v7
	v_add_co_u32 v7, vcc_lo, v3, v5
	s_delay_alu instid0(VALU_DEP_2) | instskip(SKIP_1) | instid1(VALU_DEP_1)
	v_add_nc_u32_e32 v6, v6, v8
	s_wait_alu 0xfffd
	v_add_co_ci_u32_e64 v8, null, v4, v6, vcc_lo
	global_store_b64 v[7:8], v[15:16], off
	global_wb scope:SCOPE_SYS
	s_wait_storecnt 0x0
	global_atomic_cmpswap_b64 v[5:6], v9, v[13:16], s[8:9] offset:32 th:TH_ATOMIC_RETURN scope:SCOPE_SYS
	s_wait_loadcnt 0x0
	v_cmpx_ne_u64_e64 v[5:6], v[15:16]
	s_cbranch_execz .LBB0_19
; %bb.17:
	s_mov_b32 s13, 0
.LBB0_18:                               ; =>This Inner Loop Header: Depth=1
	v_dual_mov_b32 v3, s10 :: v_dual_mov_b32 v4, s11
	s_sleep 1
	global_store_b64 v[7:8], v[5:6], off
	global_wb scope:SCOPE_SYS
	s_wait_storecnt 0x0
	global_atomic_cmpswap_b64 v[3:4], v9, v[3:6], s[8:9] offset:32 th:TH_ATOMIC_RETURN scope:SCOPE_SYS
	s_wait_loadcnt 0x0
	v_cmp_eq_u64_e32 vcc_lo, v[3:4], v[5:6]
	v_dual_mov_b32 v6, v4 :: v_dual_mov_b32 v5, v3
	s_wait_alu 0xfffe
	s_or_b32 s13, vcc_lo, s13
	s_wait_alu 0xfffe
	s_and_not1_b32 exec_lo, exec_lo, s13
	s_cbranch_execnz .LBB0_18
.LBB0_19:
	s_wait_alu 0xfffe
	s_or_b32 exec_lo, exec_lo, s12
	v_mov_b32_e32 v6, 0
	s_mov_b32 s13, exec_lo
	s_mov_b32 s12, exec_lo
	s_wait_alu 0xfffe
	v_mbcnt_lo_u32_b32 v5, s13, 0
	global_load_b64 v[3:4], v6, s[8:9] offset:16
	v_cmpx_eq_u32_e32 0, v5
	s_cbranch_execz .LBB0_21
; %bb.20:
	s_bcnt1_i32_b32 s13, s13
	s_wait_alu 0xfffe
	v_mov_b32_e32 v5, s13
	global_wb scope:SCOPE_SYS
	s_wait_loadcnt 0x0
	s_wait_storecnt 0x0
	global_atomic_add_u64 v[3:4], v[5:6], off offset:8 scope:SCOPE_SYS
.LBB0_21:
	s_or_b32 exec_lo, exec_lo, s12
	s_wait_loadcnt 0x0
	global_load_b64 v[5:6], v[3:4], off offset:16
	s_wait_loadcnt 0x0
	v_cmp_eq_u64_e32 vcc_lo, 0, v[5:6]
	s_cbranch_vccnz .LBB0_23
; %bb.22:
	global_load_b32 v3, v[3:4], off offset:24
	v_mov_b32_e32 v4, 0
	s_wait_loadcnt 0x0
	v_readfirstlane_b32 s12, v3
	global_wb scope:SCOPE_SYS
	s_wait_storecnt 0x0
	global_store_b64 v[5:6], v[3:4], off scope:SCOPE_SYS
	s_and_b32 m0, s12, 0xffffff
	s_sendmsg sendmsg(MSG_INTERRUPT)
.LBB0_23:
	s_wait_alu 0xfffe
	s_or_b32 exec_lo, exec_lo, s7
	s_branch .LBB0_27
.LBB0_24:                               ;   in Loop: Header=BB0_27 Depth=1
	s_wait_alu 0xfffe
	s_or_b32 exec_lo, exec_lo, s7
	s_delay_alu instid0(VALU_DEP_1)
	v_readfirstlane_b32 s7, v3
	s_cmp_eq_u32 s7, 0
	s_cbranch_scc1 .LBB0_26
; %bb.25:                               ;   in Loop: Header=BB0_27 Depth=1
	s_sleep 1
	s_cbranch_execnz .LBB0_27
	s_branch .LBB0_29
.LBB0_26:
	s_branch .LBB0_29
.LBB0_27:                               ; =>This Inner Loop Header: Depth=1
	v_mov_b32_e32 v3, 1
	s_and_saveexec_b32 s7, s3
	s_cbranch_execz .LBB0_24
; %bb.28:                               ;   in Loop: Header=BB0_27 Depth=1
	global_load_b32 v3, v[0:1], off offset:20 scope:SCOPE_SYS
	s_wait_loadcnt 0x0
	global_inv scope:SCOPE_SYS
	v_and_b32_e32 v3, 1, v3
	s_branch .LBB0_24
.LBB0_29:
	global_load_b64 v[3:4], v[11:12], off
	s_and_saveexec_b32 s7, s3
	s_cbranch_execz .LBB0_33
; %bb.30:
	v_mov_b32_e32 v9, 0
	s_clause 0x2
	global_load_b64 v[0:1], v9, s[8:9] offset:40
	global_load_b64 v[12:13], v9, s[8:9] offset:24 scope:SCOPE_SYS
	global_load_b64 v[5:6], v9, s[8:9]
	s_wait_loadcnt 0x2
	v_readfirstlane_b32 s12, v0
	v_readfirstlane_b32 s13, v1
	s_add_nc_u64 s[14:15], s[12:13], 1
	s_wait_alu 0xfffe
	s_add_nc_u64 s[10:11], s[14:15], s[10:11]
	s_wait_alu 0xfffe
	s_cmp_eq_u64 s[10:11], 0
	s_cselect_b32 s11, s15, s11
	s_cselect_b32 s10, s14, s10
	s_wait_alu 0xfffe
	v_mov_b32_e32 v11, s11
	s_and_b64 s[12:13], s[10:11], s[12:13]
	v_mov_b32_e32 v10, s10
	s_wait_alu 0xfffe
	s_mul_u64 s[12:13], s[12:13], 24
	s_wait_loadcnt 0x0
	s_wait_alu 0xfffe
	v_add_co_u32 v0, vcc_lo, v5, s12
	s_wait_alu 0xfffd
	v_add_co_ci_u32_e64 v1, null, s13, v6, vcc_lo
	global_store_b64 v[0:1], v[12:13], off
	global_wb scope:SCOPE_SYS
	s_wait_storecnt 0x0
	global_atomic_cmpswap_b64 v[7:8], v9, v[10:13], s[8:9] offset:24 th:TH_ATOMIC_RETURN scope:SCOPE_SYS
	s_wait_loadcnt 0x0
	v_cmp_ne_u64_e32 vcc_lo, v[7:8], v[12:13]
	s_and_b32 exec_lo, exec_lo, vcc_lo
	s_cbranch_execz .LBB0_33
; %bb.31:
	s_mov_b32 s3, 0
.LBB0_32:                               ; =>This Inner Loop Header: Depth=1
	v_dual_mov_b32 v5, s10 :: v_dual_mov_b32 v6, s11
	s_sleep 1
	global_store_b64 v[0:1], v[7:8], off
	global_wb scope:SCOPE_SYS
	s_wait_storecnt 0x0
	global_atomic_cmpswap_b64 v[5:6], v9, v[5:8], s[8:9] offset:24 th:TH_ATOMIC_RETURN scope:SCOPE_SYS
	s_wait_loadcnt 0x0
	v_cmp_eq_u64_e32 vcc_lo, v[5:6], v[7:8]
	v_dual_mov_b32 v8, v6 :: v_dual_mov_b32 v7, v5
	s_wait_alu 0xfffe
	s_or_b32 s3, vcc_lo, s3
	s_wait_alu 0xfffe
	s_and_not1_b32 exec_lo, exec_lo, s3
	s_cbranch_execnz .LBB0_32
.LBB0_33:
	s_wait_alu 0xfffe
	s_or_b32 exec_lo, exec_lo, s7
	s_getpc_b64 s[10:11]
	s_wait_alu 0xfffe
	s_sext_i32_i16 s11, s11
	s_add_co_u32 s10, s10, .str@rel32@lo+12
	s_wait_alu 0xfffe
	s_add_co_ci_u32 s11, s11, .str@rel32@hi+24
	s_wait_alu 0xfffe
	s_cmp_lg_u64 s[10:11], 0
	s_cbranch_scc0 .LBB0_112
; %bb.34:
	s_wait_loadcnt 0x0
	v_dual_mov_b32 v10, 0 :: v_dual_and_b32 v35, 2, v3
	v_dual_mov_b32 v6, v4 :: v_dual_and_b32 v5, -3, v3
	v_dual_mov_b32 v11, 2 :: v_dual_mov_b32 v12, 1
	s_mov_b64 s[12:13], 0x42
	s_branch .LBB0_36
.LBB0_35:                               ;   in Loop: Header=BB0_36 Depth=1
	s_wait_alu 0xfffe
	s_or_b32 exec_lo, exec_lo, s7
	s_sub_nc_u64 s[12:13], s[12:13], s[14:15]
	s_add_nc_u64 s[10:11], s[10:11], s[14:15]
	s_wait_alu 0xfffe
	s_cmp_lg_u64 s[12:13], 0
	s_cbranch_scc0 .LBB0_111
.LBB0_36:                               ; =>This Loop Header: Depth=1
                                        ;     Child Loop BB0_39 Depth 2
                                        ;     Child Loop BB0_46 Depth 2
	;; [unrolled: 1-line block ×11, first 2 shown]
	s_wait_alu 0xfffe
	v_cmp_lt_u64_e64 s3, s[12:13], 56
	v_cmp_gt_u64_e64 s7, s[12:13], 7
	s_and_b32 s3, s3, exec_lo
	s_cselect_b32 s15, s13, 0
	s_cselect_b32 s14, s12, 56
	s_and_b32 vcc_lo, exec_lo, s7
	s_wait_alu 0xfffe
	s_cbranch_vccnz .LBB0_41
; %bb.37:                               ;   in Loop: Header=BB0_36 Depth=1
	v_mov_b32_e32 v7, 0
	v_mov_b32_e32 v8, 0
	s_cmp_eq_u64 s[12:13], 0
	s_cbranch_scc1 .LBB0_40
; %bb.38:                               ;   in Loop: Header=BB0_36 Depth=1
	s_mov_b64 s[16:17], 0
	s_mov_b64 s[18:19], 0
.LBB0_39:                               ;   Parent Loop BB0_36 Depth=1
                                        ; =>  This Inner Loop Header: Depth=2
	s_wait_alu 0xfffe
	s_add_nc_u64 s[20:21], s[10:11], s[18:19]
	s_add_nc_u64 s[18:19], s[18:19], 1
	global_load_u8 v0, v10, s[20:21]
	s_wait_alu 0xfffe
	s_cmp_lg_u32 s14, s18
	s_wait_loadcnt 0x0
	v_and_b32_e32 v9, 0xffff, v0
	s_delay_alu instid0(VALU_DEP_1) | instskip(SKIP_1) | instid1(VALU_DEP_1)
	v_lshlrev_b64_e32 v[0:1], s16, v[9:10]
	s_add_nc_u64 s[16:17], s[16:17], 8
	v_or_b32_e32 v7, v0, v7
	s_delay_alu instid0(VALU_DEP_2)
	v_or_b32_e32 v8, v1, v8
	s_cbranch_scc1 .LBB0_39
.LBB0_40:                               ;   in Loop: Header=BB0_36 Depth=1
	s_mov_b64 s[18:19], s[10:11]
	s_mov_b32 s3, 0
	s_cbranch_execz .LBB0_42
	s_branch .LBB0_43
.LBB0_41:                               ;   in Loop: Header=BB0_36 Depth=1
	s_add_nc_u64 s[18:19], s[10:11], 8
	s_mov_b32 s3, 0
.LBB0_42:                               ;   in Loop: Header=BB0_36 Depth=1
	global_load_b64 v[7:8], v10, s[10:11]
	s_add_co_i32 s3, s14, -8
.LBB0_43:                               ;   in Loop: Header=BB0_36 Depth=1
	s_wait_alu 0xfffe
	s_cmp_gt_u32 s3, 7
	s_cbranch_scc1 .LBB0_48
; %bb.44:                               ;   in Loop: Header=BB0_36 Depth=1
	v_mov_b32_e32 v13, 0
	v_mov_b32_e32 v14, 0
	s_cmp_eq_u32 s3, 0
	s_cbranch_scc1 .LBB0_47
; %bb.45:                               ;   in Loop: Header=BB0_36 Depth=1
	s_mov_b64 s[16:17], 0
	s_mov_b64 s[20:21], 0
.LBB0_46:                               ;   Parent Loop BB0_36 Depth=1
                                        ; =>  This Inner Loop Header: Depth=2
	s_delay_alu instid0(SALU_CYCLE_1)
	s_add_nc_u64 s[26:27], s[18:19], s[20:21]
	s_add_nc_u64 s[20:21], s[20:21], 1
	global_load_u8 v0, v10, s[26:27]
	s_cmp_lg_u32 s3, s20
	s_wait_loadcnt 0x0
	v_and_b32_e32 v9, 0xffff, v0
	s_wait_alu 0xfffe
	s_delay_alu instid0(VALU_DEP_1) | instskip(SKIP_1) | instid1(VALU_DEP_1)
	v_lshlrev_b64_e32 v[0:1], s16, v[9:10]
	s_add_nc_u64 s[16:17], s[16:17], 8
	v_or_b32_e32 v13, v0, v13
	s_delay_alu instid0(VALU_DEP_2)
	v_or_b32_e32 v14, v1, v14
	s_cbranch_scc1 .LBB0_46
.LBB0_47:                               ;   in Loop: Header=BB0_36 Depth=1
	s_mov_b64 s[16:17], s[18:19]
	s_mov_b32 s7, 0
	s_cbranch_execz .LBB0_49
	s_branch .LBB0_50
.LBB0_48:                               ;   in Loop: Header=BB0_36 Depth=1
	s_add_nc_u64 s[16:17], s[18:19], 8
                                        ; implicit-def: $vgpr13_vgpr14
	s_mov_b32 s7, 0
.LBB0_49:                               ;   in Loop: Header=BB0_36 Depth=1
	global_load_b64 v[13:14], v10, s[18:19]
	s_add_co_i32 s7, s3, -8
.LBB0_50:                               ;   in Loop: Header=BB0_36 Depth=1
	s_wait_alu 0xfffe
	s_cmp_gt_u32 s7, 7
	s_cbranch_scc1 .LBB0_55
; %bb.51:                               ;   in Loop: Header=BB0_36 Depth=1
	v_mov_b32_e32 v15, 0
	v_mov_b32_e32 v16, 0
	s_cmp_eq_u32 s7, 0
	s_cbranch_scc1 .LBB0_54
; %bb.52:                               ;   in Loop: Header=BB0_36 Depth=1
	s_mov_b64 s[18:19], 0
	s_mov_b64 s[20:21], 0
.LBB0_53:                               ;   Parent Loop BB0_36 Depth=1
                                        ; =>  This Inner Loop Header: Depth=2
	s_delay_alu instid0(SALU_CYCLE_1)
	s_add_nc_u64 s[26:27], s[16:17], s[20:21]
	s_add_nc_u64 s[20:21], s[20:21], 1
	global_load_u8 v0, v10, s[26:27]
	s_cmp_lg_u32 s7, s20
	s_wait_loadcnt 0x0
	v_and_b32_e32 v9, 0xffff, v0
	s_wait_alu 0xfffe
	s_delay_alu instid0(VALU_DEP_1) | instskip(SKIP_1) | instid1(VALU_DEP_1)
	v_lshlrev_b64_e32 v[0:1], s18, v[9:10]
	s_add_nc_u64 s[18:19], s[18:19], 8
	v_or_b32_e32 v15, v0, v15
	s_delay_alu instid0(VALU_DEP_2)
	v_or_b32_e32 v16, v1, v16
	s_cbranch_scc1 .LBB0_53
.LBB0_54:                               ;   in Loop: Header=BB0_36 Depth=1
	s_mov_b64 s[18:19], s[16:17]
	s_mov_b32 s3, 0
	s_cbranch_execz .LBB0_56
	s_branch .LBB0_57
.LBB0_55:                               ;   in Loop: Header=BB0_36 Depth=1
	s_add_nc_u64 s[18:19], s[16:17], 8
	s_mov_b32 s3, 0
.LBB0_56:                               ;   in Loop: Header=BB0_36 Depth=1
	global_load_b64 v[15:16], v10, s[16:17]
	s_add_co_i32 s3, s7, -8
.LBB0_57:                               ;   in Loop: Header=BB0_36 Depth=1
	s_wait_alu 0xfffe
	s_cmp_gt_u32 s3, 7
	s_cbranch_scc1 .LBB0_62
; %bb.58:                               ;   in Loop: Header=BB0_36 Depth=1
	v_mov_b32_e32 v17, 0
	v_mov_b32_e32 v18, 0
	s_cmp_eq_u32 s3, 0
	s_cbranch_scc1 .LBB0_61
; %bb.59:                               ;   in Loop: Header=BB0_36 Depth=1
	s_mov_b64 s[16:17], 0
	s_mov_b64 s[20:21], 0
.LBB0_60:                               ;   Parent Loop BB0_36 Depth=1
                                        ; =>  This Inner Loop Header: Depth=2
	s_delay_alu instid0(SALU_CYCLE_1)
	s_add_nc_u64 s[26:27], s[18:19], s[20:21]
	s_add_nc_u64 s[20:21], s[20:21], 1
	global_load_u8 v0, v10, s[26:27]
	s_cmp_lg_u32 s3, s20
	s_wait_loadcnt 0x0
	v_and_b32_e32 v9, 0xffff, v0
	s_wait_alu 0xfffe
	s_delay_alu instid0(VALU_DEP_1) | instskip(SKIP_1) | instid1(VALU_DEP_1)
	v_lshlrev_b64_e32 v[0:1], s16, v[9:10]
	s_add_nc_u64 s[16:17], s[16:17], 8
	v_or_b32_e32 v17, v0, v17
	s_delay_alu instid0(VALU_DEP_2)
	v_or_b32_e32 v18, v1, v18
	s_cbranch_scc1 .LBB0_60
.LBB0_61:                               ;   in Loop: Header=BB0_36 Depth=1
	s_mov_b64 s[16:17], s[18:19]
	s_mov_b32 s7, 0
	s_cbranch_execz .LBB0_63
	s_branch .LBB0_64
.LBB0_62:                               ;   in Loop: Header=BB0_36 Depth=1
	s_add_nc_u64 s[16:17], s[18:19], 8
                                        ; implicit-def: $vgpr17_vgpr18
	s_mov_b32 s7, 0
.LBB0_63:                               ;   in Loop: Header=BB0_36 Depth=1
	global_load_b64 v[17:18], v10, s[18:19]
	s_add_co_i32 s7, s3, -8
.LBB0_64:                               ;   in Loop: Header=BB0_36 Depth=1
	s_wait_alu 0xfffe
	s_cmp_gt_u32 s7, 7
	s_cbranch_scc1 .LBB0_69
; %bb.65:                               ;   in Loop: Header=BB0_36 Depth=1
	v_mov_b32_e32 v19, 0
	v_mov_b32_e32 v20, 0
	s_cmp_eq_u32 s7, 0
	s_cbranch_scc1 .LBB0_68
; %bb.66:                               ;   in Loop: Header=BB0_36 Depth=1
	s_mov_b64 s[18:19], 0
	s_mov_b64 s[20:21], 0
.LBB0_67:                               ;   Parent Loop BB0_36 Depth=1
                                        ; =>  This Inner Loop Header: Depth=2
	s_delay_alu instid0(SALU_CYCLE_1)
	s_add_nc_u64 s[26:27], s[16:17], s[20:21]
	s_add_nc_u64 s[20:21], s[20:21], 1
	global_load_u8 v0, v10, s[26:27]
	s_cmp_lg_u32 s7, s20
	s_wait_loadcnt 0x0
	v_and_b32_e32 v9, 0xffff, v0
	s_wait_alu 0xfffe
	s_delay_alu instid0(VALU_DEP_1) | instskip(SKIP_1) | instid1(VALU_DEP_1)
	v_lshlrev_b64_e32 v[0:1], s18, v[9:10]
	s_add_nc_u64 s[18:19], s[18:19], 8
	v_or_b32_e32 v19, v0, v19
	s_delay_alu instid0(VALU_DEP_2)
	v_or_b32_e32 v20, v1, v20
	s_cbranch_scc1 .LBB0_67
.LBB0_68:                               ;   in Loop: Header=BB0_36 Depth=1
	s_mov_b64 s[18:19], s[16:17]
	s_mov_b32 s3, 0
	s_cbranch_execz .LBB0_70
	s_branch .LBB0_71
.LBB0_69:                               ;   in Loop: Header=BB0_36 Depth=1
	s_add_nc_u64 s[18:19], s[16:17], 8
	s_mov_b32 s3, 0
.LBB0_70:                               ;   in Loop: Header=BB0_36 Depth=1
	global_load_b64 v[19:20], v10, s[16:17]
	s_add_co_i32 s3, s7, -8
.LBB0_71:                               ;   in Loop: Header=BB0_36 Depth=1
	s_wait_alu 0xfffe
	s_cmp_gt_u32 s3, 7
	s_cbranch_scc1 .LBB0_76
; %bb.72:                               ;   in Loop: Header=BB0_36 Depth=1
	v_mov_b32_e32 v21, 0
	v_mov_b32_e32 v22, 0
	s_cmp_eq_u32 s3, 0
	s_cbranch_scc1 .LBB0_75
; %bb.73:                               ;   in Loop: Header=BB0_36 Depth=1
	s_mov_b64 s[16:17], 0
	s_mov_b64 s[20:21], 0
.LBB0_74:                               ;   Parent Loop BB0_36 Depth=1
                                        ; =>  This Inner Loop Header: Depth=2
	s_delay_alu instid0(SALU_CYCLE_1)
	s_add_nc_u64 s[26:27], s[18:19], s[20:21]
	s_add_nc_u64 s[20:21], s[20:21], 1
	global_load_u8 v0, v10, s[26:27]
	s_cmp_lg_u32 s3, s20
	s_wait_loadcnt 0x0
	v_and_b32_e32 v9, 0xffff, v0
	s_wait_alu 0xfffe
	s_delay_alu instid0(VALU_DEP_1) | instskip(SKIP_1) | instid1(VALU_DEP_1)
	v_lshlrev_b64_e32 v[0:1], s16, v[9:10]
	s_add_nc_u64 s[16:17], s[16:17], 8
	v_or_b32_e32 v21, v0, v21
	s_delay_alu instid0(VALU_DEP_2)
	v_or_b32_e32 v22, v1, v22
	s_cbranch_scc1 .LBB0_74
.LBB0_75:                               ;   in Loop: Header=BB0_36 Depth=1
	s_mov_b64 s[16:17], s[18:19]
	s_mov_b32 s7, 0
	s_cbranch_execz .LBB0_77
	s_branch .LBB0_78
.LBB0_76:                               ;   in Loop: Header=BB0_36 Depth=1
	s_add_nc_u64 s[16:17], s[18:19], 8
                                        ; implicit-def: $vgpr21_vgpr22
	s_mov_b32 s7, 0
.LBB0_77:                               ;   in Loop: Header=BB0_36 Depth=1
	global_load_b64 v[21:22], v10, s[18:19]
	s_add_co_i32 s7, s3, -8
.LBB0_78:                               ;   in Loop: Header=BB0_36 Depth=1
	s_wait_alu 0xfffe
	s_cmp_gt_u32 s7, 7
	s_cbranch_scc1 .LBB0_83
; %bb.79:                               ;   in Loop: Header=BB0_36 Depth=1
	v_mov_b32_e32 v23, 0
	v_mov_b32_e32 v24, 0
	s_cmp_eq_u32 s7, 0
	s_cbranch_scc1 .LBB0_82
; %bb.80:                               ;   in Loop: Header=BB0_36 Depth=1
	s_mov_b64 s[18:19], 0
	s_mov_b64 s[20:21], s[16:17]
.LBB0_81:                               ;   Parent Loop BB0_36 Depth=1
                                        ; =>  This Inner Loop Header: Depth=2
	global_load_u8 v0, v10, s[20:21]
	s_add_co_i32 s7, s7, -1
	s_add_nc_u64 s[20:21], s[20:21], 1
	s_wait_alu 0xfffe
	s_cmp_lg_u32 s7, 0
	s_wait_loadcnt 0x0
	v_and_b32_e32 v9, 0xffff, v0
	s_delay_alu instid0(VALU_DEP_1) | instskip(SKIP_1) | instid1(VALU_DEP_1)
	v_lshlrev_b64_e32 v[0:1], s18, v[9:10]
	s_add_nc_u64 s[18:19], s[18:19], 8
	v_or_b32_e32 v23, v0, v23
	s_delay_alu instid0(VALU_DEP_2)
	v_or_b32_e32 v24, v1, v24
	s_cbranch_scc1 .LBB0_81
.LBB0_82:                               ;   in Loop: Header=BB0_36 Depth=1
	s_cbranch_execz .LBB0_84
	s_branch .LBB0_85
.LBB0_83:                               ;   in Loop: Header=BB0_36 Depth=1
.LBB0_84:                               ;   in Loop: Header=BB0_36 Depth=1
	global_load_b64 v[23:24], v10, s[16:17]
.LBB0_85:                               ;   in Loop: Header=BB0_36 Depth=1
	v_readfirstlane_b32 s3, v32
	v_mov_b32_e32 v0, 0
	v_mov_b32_e32 v1, 0
	s_wait_alu 0xf1ff
	s_delay_alu instid0(VALU_DEP_3)
	v_cmp_eq_u32_e64 s3, s3, v32
	s_and_saveexec_b32 s7, s3
	s_cbranch_execz .LBB0_91
; %bb.86:                               ;   in Loop: Header=BB0_36 Depth=1
	global_load_b64 v[27:28], v10, s[8:9] offset:24 scope:SCOPE_SYS
	s_wait_loadcnt 0x0
	global_inv scope:SCOPE_SYS
	s_clause 0x1
	global_load_b64 v[0:1], v10, s[8:9] offset:40
	global_load_b64 v[25:26], v10, s[8:9]
	s_mov_b32 s16, exec_lo
	s_wait_loadcnt 0x1
	v_and_b32_e32 v1, v1, v28
	v_and_b32_e32 v0, v0, v27
	s_delay_alu instid0(VALU_DEP_2) | instskip(NEXT) | instid1(VALU_DEP_2)
	v_mul_lo_u32 v1, 24, v1
	v_mul_lo_u32 v9, 0, v0
	v_mul_hi_u32 v29, 24, v0
	v_mul_lo_u32 v0, 24, v0
	s_delay_alu instid0(VALU_DEP_3) | instskip(SKIP_1) | instid1(VALU_DEP_2)
	v_add_nc_u32_e32 v1, v1, v9
	s_wait_loadcnt 0x0
	v_add_co_u32 v0, vcc_lo, v25, v0
	s_delay_alu instid0(VALU_DEP_2) | instskip(SKIP_1) | instid1(VALU_DEP_1)
	v_add_nc_u32_e32 v1, v1, v29
	s_wait_alu 0xfffd
	v_add_co_ci_u32_e64 v1, null, v26, v1, vcc_lo
	global_load_b64 v[25:26], v[0:1], off scope:SCOPE_SYS
	s_wait_loadcnt 0x0
	global_atomic_cmpswap_b64 v[0:1], v10, v[25:28], s[8:9] offset:24 th:TH_ATOMIC_RETURN scope:SCOPE_SYS
	s_wait_loadcnt 0x0
	global_inv scope:SCOPE_SYS
	v_cmpx_ne_u64_e64 v[0:1], v[27:28]
	s_cbranch_execz .LBB0_90
; %bb.87:                               ;   in Loop: Header=BB0_36 Depth=1
	s_mov_b32 s17, 0
.LBB0_88:                               ;   Parent Loop BB0_36 Depth=1
                                        ; =>  This Inner Loop Header: Depth=2
	s_sleep 1
	s_clause 0x1
	global_load_b64 v[25:26], v10, s[8:9] offset:40
	global_load_b64 v[29:30], v10, s[8:9]
	v_dual_mov_b32 v28, v1 :: v_dual_mov_b32 v27, v0
	s_wait_loadcnt 0x1
	s_delay_alu instid0(VALU_DEP_1) | instskip(NEXT) | instid1(VALU_DEP_2)
	v_and_b32_e32 v0, v25, v27
	v_and_b32_e32 v9, v26, v28
	s_wait_loadcnt 0x0
	s_delay_alu instid0(VALU_DEP_2) | instskip(NEXT) | instid1(VALU_DEP_1)
	v_mad_co_u64_u32 v[0:1], null, v0, 24, v[29:30]
	v_mad_co_u64_u32 v[25:26], null, v9, 24, v[1:2]
	s_delay_alu instid0(VALU_DEP_1)
	v_mov_b32_e32 v1, v25
	global_load_b64 v[25:26], v[0:1], off scope:SCOPE_SYS
	s_wait_loadcnt 0x0
	global_atomic_cmpswap_b64 v[0:1], v10, v[25:28], s[8:9] offset:24 th:TH_ATOMIC_RETURN scope:SCOPE_SYS
	s_wait_loadcnt 0x0
	global_inv scope:SCOPE_SYS
	v_cmp_eq_u64_e32 vcc_lo, v[0:1], v[27:28]
	s_wait_alu 0xfffe
	s_or_b32 s17, vcc_lo, s17
	s_wait_alu 0xfffe
	s_and_not1_b32 exec_lo, exec_lo, s17
	s_cbranch_execnz .LBB0_88
; %bb.89:                               ;   in Loop: Header=BB0_36 Depth=1
	s_or_b32 exec_lo, exec_lo, s17
.LBB0_90:                               ;   in Loop: Header=BB0_36 Depth=1
	s_wait_alu 0xfffe
	s_or_b32 exec_lo, exec_lo, s16
.LBB0_91:                               ;   in Loop: Header=BB0_36 Depth=1
	s_wait_alu 0xfffe
	s_or_b32 exec_lo, exec_lo, s7
	s_clause 0x1
	global_load_b64 v[29:30], v10, s[8:9] offset:40
	global_load_b128 v[25:28], v10, s[8:9]
	v_readfirstlane_b32 s17, v1
	v_readfirstlane_b32 s16, v0
	s_mov_b32 s7, exec_lo
	s_wait_loadcnt 0x1
	s_wait_alu 0xf1ff
	v_and_b32_e32 v30, s17, v30
	v_and_b32_e32 v29, s16, v29
	s_delay_alu instid0(VALU_DEP_2) | instskip(NEXT) | instid1(VALU_DEP_2)
	v_mul_lo_u32 v0, 24, v30
	v_mul_lo_u32 v1, 0, v29
	v_mul_hi_u32 v9, 24, v29
	v_mul_lo_u32 v36, 24, v29
	s_delay_alu instid0(VALU_DEP_3) | instskip(NEXT) | instid1(VALU_DEP_1)
	v_add_nc_u32_e32 v0, v0, v1
	v_add_nc_u32_e32 v1, v0, v9
	s_wait_loadcnt 0x0
	s_delay_alu instid0(VALU_DEP_3) | instskip(SKIP_1) | instid1(VALU_DEP_2)
	v_add_co_u32 v0, vcc_lo, v25, v36
	s_wait_alu 0xfffd
	v_add_co_ci_u32_e64 v1, null, v26, v1, vcc_lo
	s_and_saveexec_b32 s18, s3
	s_cbranch_execz .LBB0_93
; %bb.92:                               ;   in Loop: Header=BB0_36 Depth=1
	s_wait_alu 0xfffe
	v_mov_b32_e32 v9, s7
	global_store_b128 v[0:1], v[9:12], off offset:8
.LBB0_93:                               ;   in Loop: Header=BB0_36 Depth=1
	s_wait_alu 0xfffe
	s_or_b32 exec_lo, exec_lo, s18
	v_cmp_lt_u64_e64 vcc_lo, s[12:13], 57
	v_lshlrev_b64_e32 v[29:30], 12, v[29:30]
	v_and_b32_e32 v5, 0xffffff1f, v5
	s_lshl_b32 s7, s14, 2
	s_wait_alu 0xfffe
	s_add_co_i32 s7, s7, 28
	s_wait_alu 0xfffd
	v_cndmask_b32_e32 v9, 0, v35, vcc_lo
	v_add_co_u32 v27, vcc_lo, v27, v29
	s_wait_alu 0xfffd
	v_add_co_ci_u32_e64 v28, null, v28, v30, vcc_lo
	s_delay_alu instid0(VALU_DEP_3) | instskip(NEXT) | instid1(VALU_DEP_3)
	v_or_b32_e32 v5, v5, v9
	v_readfirstlane_b32 s18, v27
	s_delay_alu instid0(VALU_DEP_3) | instskip(SKIP_1) | instid1(VALU_DEP_3)
	v_readfirstlane_b32 s19, v28
	s_wait_alu 0xfffe
	v_and_or_b32 v5, 0x1e0, s7, v5
	s_clause 0x3
	global_store_b128 v31, v[5:8], s[18:19]
	global_store_b128 v31, v[13:16], s[18:19] offset:16
	global_store_b128 v31, v[17:20], s[18:19] offset:32
	;; [unrolled: 1-line block ×3, first 2 shown]
	s_and_saveexec_b32 s7, s3
	s_cbranch_execz .LBB0_101
; %bb.94:                               ;   in Loop: Header=BB0_36 Depth=1
	s_clause 0x1
	global_load_b64 v[17:18], v10, s[8:9] offset:32 scope:SCOPE_SYS
	global_load_b64 v[5:6], v10, s[8:9] offset:40
	s_mov_b32 s18, exec_lo
	v_dual_mov_b32 v15, s16 :: v_dual_mov_b32 v16, s17
	s_wait_loadcnt 0x0
	v_and_b32_e32 v5, s16, v5
	v_and_b32_e32 v6, s17, v6
	s_delay_alu instid0(VALU_DEP_2) | instskip(NEXT) | instid1(VALU_DEP_2)
	v_mul_lo_u32 v7, 0, v5
	v_mul_lo_u32 v6, 24, v6
	v_mul_hi_u32 v8, 24, v5
	v_mul_lo_u32 v5, 24, v5
	s_delay_alu instid0(VALU_DEP_3) | instskip(NEXT) | instid1(VALU_DEP_2)
	v_add_nc_u32_e32 v6, v6, v7
	v_add_co_u32 v13, vcc_lo, v25, v5
	s_delay_alu instid0(VALU_DEP_2) | instskip(SKIP_1) | instid1(VALU_DEP_1)
	v_add_nc_u32_e32 v6, v6, v8
	s_wait_alu 0xfffd
	v_add_co_ci_u32_e64 v14, null, v26, v6, vcc_lo
	global_store_b64 v[13:14], v[17:18], off
	global_wb scope:SCOPE_SYS
	s_wait_storecnt 0x0
	global_atomic_cmpswap_b64 v[7:8], v10, v[15:18], s[8:9] offset:32 th:TH_ATOMIC_RETURN scope:SCOPE_SYS
	s_wait_loadcnt 0x0
	v_cmpx_ne_u64_e64 v[7:8], v[17:18]
	s_cbranch_execz .LBB0_97
; %bb.95:                               ;   in Loop: Header=BB0_36 Depth=1
	s_mov_b32 s19, 0
.LBB0_96:                               ;   Parent Loop BB0_36 Depth=1
                                        ; =>  This Inner Loop Header: Depth=2
	v_dual_mov_b32 v5, s16 :: v_dual_mov_b32 v6, s17
	s_sleep 1
	global_store_b64 v[13:14], v[7:8], off
	global_wb scope:SCOPE_SYS
	s_wait_storecnt 0x0
	global_atomic_cmpswap_b64 v[5:6], v10, v[5:8], s[8:9] offset:32 th:TH_ATOMIC_RETURN scope:SCOPE_SYS
	s_wait_loadcnt 0x0
	v_cmp_eq_u64_e32 vcc_lo, v[5:6], v[7:8]
	v_dual_mov_b32 v8, v6 :: v_dual_mov_b32 v7, v5
	s_wait_alu 0xfffe
	s_or_b32 s19, vcc_lo, s19
	s_wait_alu 0xfffe
	s_and_not1_b32 exec_lo, exec_lo, s19
	s_cbranch_execnz .LBB0_96
.LBB0_97:                               ;   in Loop: Header=BB0_36 Depth=1
	s_wait_alu 0xfffe
	s_or_b32 exec_lo, exec_lo, s18
	global_load_b64 v[5:6], v10, s[8:9] offset:16
	s_mov_b32 s19, exec_lo
	s_mov_b32 s18, exec_lo
	s_wait_alu 0xfffe
	v_mbcnt_lo_u32_b32 v7, s19, 0
	s_delay_alu instid0(VALU_DEP_1)
	v_cmpx_eq_u32_e32 0, v7
	s_cbranch_execz .LBB0_99
; %bb.98:                               ;   in Loop: Header=BB0_36 Depth=1
	s_bcnt1_i32_b32 s19, s19
	s_wait_alu 0xfffe
	v_mov_b32_e32 v9, s19
	global_wb scope:SCOPE_SYS
	s_wait_loadcnt 0x0
	s_wait_storecnt 0x0
	global_atomic_add_u64 v[5:6], v[9:10], off offset:8 scope:SCOPE_SYS
.LBB0_99:                               ;   in Loop: Header=BB0_36 Depth=1
	s_or_b32 exec_lo, exec_lo, s18
	s_wait_loadcnt 0x0
	global_load_b64 v[7:8], v[5:6], off offset:16
	s_wait_loadcnt 0x0
	v_cmp_eq_u64_e32 vcc_lo, 0, v[7:8]
	s_cbranch_vccnz .LBB0_101
; %bb.100:                              ;   in Loop: Header=BB0_36 Depth=1
	global_load_b32 v9, v[5:6], off offset:24
	s_wait_loadcnt 0x0
	v_readfirstlane_b32 s18, v9
	global_wb scope:SCOPE_SYS
	s_wait_storecnt 0x0
	global_store_b64 v[7:8], v[9:10], off scope:SCOPE_SYS
	s_and_b32 m0, s18, 0xffffff
	s_sendmsg sendmsg(MSG_INTERRUPT)
.LBB0_101:                              ;   in Loop: Header=BB0_36 Depth=1
	s_wait_alu 0xfffe
	s_or_b32 exec_lo, exec_lo, s7
	v_add_co_u32 v5, vcc_lo, v27, v31
	s_wait_alu 0xfffd
	v_add_co_ci_u32_e64 v6, null, 0, v28, vcc_lo
	s_branch .LBB0_105
.LBB0_102:                              ;   in Loop: Header=BB0_105 Depth=2
	s_wait_alu 0xfffe
	s_or_b32 exec_lo, exec_lo, s7
	s_delay_alu instid0(VALU_DEP_1)
	v_readfirstlane_b32 s7, v7
	s_cmp_eq_u32 s7, 0
	s_cbranch_scc1 .LBB0_104
; %bb.103:                              ;   in Loop: Header=BB0_105 Depth=2
	s_sleep 1
	s_cbranch_execnz .LBB0_105
	s_branch .LBB0_107
.LBB0_104:                              ;   in Loop: Header=BB0_36 Depth=1
	s_branch .LBB0_107
.LBB0_105:                              ;   Parent Loop BB0_36 Depth=1
                                        ; =>  This Inner Loop Header: Depth=2
	v_mov_b32_e32 v7, 1
	s_and_saveexec_b32 s7, s3
	s_cbranch_execz .LBB0_102
; %bb.106:                              ;   in Loop: Header=BB0_105 Depth=2
	global_load_b32 v7, v[0:1], off offset:20 scope:SCOPE_SYS
	s_wait_loadcnt 0x0
	global_inv scope:SCOPE_SYS
	v_and_b32_e32 v7, 1, v7
	s_branch .LBB0_102
.LBB0_107:                              ;   in Loop: Header=BB0_36 Depth=1
	global_load_b64 v[5:6], v[5:6], off
	s_and_saveexec_b32 s7, s3
	s_cbranch_execz .LBB0_35
; %bb.108:                              ;   in Loop: Header=BB0_36 Depth=1
	s_clause 0x2
	global_load_b64 v[0:1], v10, s[8:9] offset:40
	global_load_b64 v[17:18], v10, s[8:9] offset:24 scope:SCOPE_SYS
	global_load_b64 v[7:8], v10, s[8:9]
	s_wait_loadcnt 0x2
	v_readfirstlane_b32 s18, v0
	v_readfirstlane_b32 s19, v1
	s_add_nc_u64 s[20:21], s[18:19], 1
	s_delay_alu instid0(SALU_CYCLE_1)
	s_add_nc_u64 s[16:17], s[20:21], s[16:17]
	s_wait_alu 0xfffe
	s_cmp_eq_u64 s[16:17], 0
	s_cselect_b32 s17, s21, s17
	s_cselect_b32 s16, s20, s16
	s_wait_alu 0xfffe
	v_dual_mov_b32 v16, s17 :: v_dual_mov_b32 v15, s16
	s_and_b64 s[18:19], s[16:17], s[18:19]
	s_wait_alu 0xfffe
	s_mul_u64 s[18:19], s[18:19], 24
	s_wait_loadcnt 0x0
	s_wait_alu 0xfffe
	v_add_co_u32 v0, vcc_lo, v7, s18
	s_wait_alu 0xfffd
	v_add_co_ci_u32_e64 v1, null, s19, v8, vcc_lo
	global_store_b64 v[0:1], v[17:18], off
	global_wb scope:SCOPE_SYS
	s_wait_storecnt 0x0
	global_atomic_cmpswap_b64 v[15:16], v10, v[15:18], s[8:9] offset:24 th:TH_ATOMIC_RETURN scope:SCOPE_SYS
	s_wait_loadcnt 0x0
	v_cmp_ne_u64_e32 vcc_lo, v[15:16], v[17:18]
	s_and_b32 exec_lo, exec_lo, vcc_lo
	s_cbranch_execz .LBB0_35
; %bb.109:                              ;   in Loop: Header=BB0_36 Depth=1
	s_mov_b32 s3, 0
.LBB0_110:                              ;   Parent Loop BB0_36 Depth=1
                                        ; =>  This Inner Loop Header: Depth=2
	v_dual_mov_b32 v13, s16 :: v_dual_mov_b32 v14, s17
	s_sleep 1
	global_store_b64 v[0:1], v[15:16], off
	global_wb scope:SCOPE_SYS
	s_wait_storecnt 0x0
	global_atomic_cmpswap_b64 v[7:8], v10, v[13:16], s[8:9] offset:24 th:TH_ATOMIC_RETURN scope:SCOPE_SYS
	s_wait_loadcnt 0x0
	v_cmp_eq_u64_e32 vcc_lo, v[7:8], v[15:16]
	v_dual_mov_b32 v16, v8 :: v_dual_mov_b32 v15, v7
	s_wait_alu 0xfffe
	s_or_b32 s3, vcc_lo, s3
	s_wait_alu 0xfffe
	s_and_not1_b32 exec_lo, exec_lo, s3
	s_cbranch_execnz .LBB0_110
	s_branch .LBB0_35
.LBB0_111:
	s_branch .LBB0_140
.LBB0_112:
                                        ; implicit-def: $vgpr5_vgpr6
	s_cbranch_execz .LBB0_140
; %bb.113:
	v_readfirstlane_b32 s3, v32
	v_mov_b32_e32 v0, 0
	v_mov_b32_e32 v1, 0
	s_wait_alu 0xf1ff
	s_delay_alu instid0(VALU_DEP_3)
	v_cmp_eq_u32_e64 s3, s3, v32
	s_and_saveexec_b32 s7, s3
	s_cbranch_execz .LBB0_119
; %bb.114:
	s_wait_loadcnt 0x0
	v_mov_b32_e32 v5, 0
	s_mov_b32 s10, exec_lo
	global_load_b64 v[8:9], v5, s[8:9] offset:24 scope:SCOPE_SYS
	s_wait_loadcnt 0x0
	global_inv scope:SCOPE_SYS
	s_clause 0x1
	global_load_b64 v[0:1], v5, s[8:9] offset:40
	global_load_b64 v[6:7], v5, s[8:9]
	s_wait_loadcnt 0x1
	v_and_b32_e32 v1, v1, v9
	v_and_b32_e32 v0, v0, v8
	s_delay_alu instid0(VALU_DEP_2) | instskip(NEXT) | instid1(VALU_DEP_2)
	v_mul_lo_u32 v1, 24, v1
	v_mul_lo_u32 v10, 0, v0
	v_mul_hi_u32 v11, 24, v0
	v_mul_lo_u32 v0, 24, v0
	s_delay_alu instid0(VALU_DEP_3) | instskip(SKIP_1) | instid1(VALU_DEP_2)
	v_add_nc_u32_e32 v1, v1, v10
	s_wait_loadcnt 0x0
	v_add_co_u32 v0, vcc_lo, v6, v0
	s_delay_alu instid0(VALU_DEP_2) | instskip(SKIP_1) | instid1(VALU_DEP_1)
	v_add_nc_u32_e32 v1, v1, v11
	s_wait_alu 0xfffd
	v_add_co_ci_u32_e64 v1, null, v7, v1, vcc_lo
	global_load_b64 v[6:7], v[0:1], off scope:SCOPE_SYS
	s_wait_loadcnt 0x0
	global_atomic_cmpswap_b64 v[0:1], v5, v[6:9], s[8:9] offset:24 th:TH_ATOMIC_RETURN scope:SCOPE_SYS
	s_wait_loadcnt 0x0
	global_inv scope:SCOPE_SYS
	v_cmpx_ne_u64_e64 v[0:1], v[8:9]
	s_cbranch_execz .LBB0_118
; %bb.115:
	s_mov_b32 s11, 0
.LBB0_116:                              ; =>This Inner Loop Header: Depth=1
	s_sleep 1
	s_clause 0x1
	global_load_b64 v[6:7], v5, s[8:9] offset:40
	global_load_b64 v[10:11], v5, s[8:9]
	v_dual_mov_b32 v9, v1 :: v_dual_mov_b32 v8, v0
	s_wait_loadcnt 0x1
	s_delay_alu instid0(VALU_DEP_1) | instskip(NEXT) | instid1(VALU_DEP_2)
	v_and_b32_e32 v0, v6, v8
	v_and_b32_e32 v6, v7, v9
	s_wait_loadcnt 0x0
	s_delay_alu instid0(VALU_DEP_2) | instskip(NEXT) | instid1(VALU_DEP_1)
	v_mad_co_u64_u32 v[0:1], null, v0, 24, v[10:11]
	v_mad_co_u64_u32 v[6:7], null, v6, 24, v[1:2]
	s_delay_alu instid0(VALU_DEP_1)
	v_mov_b32_e32 v1, v6
	global_load_b64 v[6:7], v[0:1], off scope:SCOPE_SYS
	s_wait_loadcnt 0x0
	global_atomic_cmpswap_b64 v[0:1], v5, v[6:9], s[8:9] offset:24 th:TH_ATOMIC_RETURN scope:SCOPE_SYS
	s_wait_loadcnt 0x0
	global_inv scope:SCOPE_SYS
	v_cmp_eq_u64_e32 vcc_lo, v[0:1], v[8:9]
	s_wait_alu 0xfffe
	s_or_b32 s11, vcc_lo, s11
	s_wait_alu 0xfffe
	s_and_not1_b32 exec_lo, exec_lo, s11
	s_cbranch_execnz .LBB0_116
; %bb.117:
	s_or_b32 exec_lo, exec_lo, s11
.LBB0_118:
	s_wait_alu 0xfffe
	s_or_b32 exec_lo, exec_lo, s10
.LBB0_119:
	s_wait_alu 0xfffe
	s_or_b32 exec_lo, exec_lo, s7
	v_readfirstlane_b32 s11, v1
	s_wait_loadcnt 0x0
	v_mov_b32_e32 v5, 0
	v_readfirstlane_b32 s10, v0
	s_mov_b32 s7, exec_lo
	s_clause 0x1
	global_load_b64 v[11:12], v5, s[8:9] offset:40
	global_load_b128 v[7:10], v5, s[8:9]
	s_wait_loadcnt 0x1
	s_wait_alu 0xf1ff
	v_and_b32_e32 v12, s11, v12
	v_and_b32_e32 v11, s10, v11
	s_delay_alu instid0(VALU_DEP_2) | instskip(NEXT) | instid1(VALU_DEP_2)
	v_mul_lo_u32 v0, 24, v12
	v_mul_lo_u32 v1, 0, v11
	v_mul_hi_u32 v6, 24, v11
	v_mul_lo_u32 v13, 24, v11
	s_delay_alu instid0(VALU_DEP_3) | instskip(NEXT) | instid1(VALU_DEP_1)
	v_add_nc_u32_e32 v0, v0, v1
	v_add_nc_u32_e32 v1, v0, v6
	s_wait_loadcnt 0x0
	s_delay_alu instid0(VALU_DEP_3) | instskip(SKIP_1) | instid1(VALU_DEP_2)
	v_add_co_u32 v0, vcc_lo, v7, v13
	s_wait_alu 0xfffd
	v_add_co_ci_u32_e64 v1, null, v8, v1, vcc_lo
	s_and_saveexec_b32 s12, s3
	s_cbranch_execz .LBB0_121
; %bb.120:
	s_wait_alu 0xfffe
	v_dual_mov_b32 v13, s7 :: v_dual_mov_b32 v14, v5
	v_dual_mov_b32 v15, 2 :: v_dual_mov_b32 v16, 1
	global_store_b128 v[0:1], v[13:16], off offset:8
.LBB0_121:
	s_wait_alu 0xfffe
	s_or_b32 exec_lo, exec_lo, s12
	v_lshlrev_b64_e32 v[11:12], 12, v[11:12]
	s_mov_b32 s12, 0
	v_and_or_b32 v3, 0xffffff1f, v3, 32
	s_wait_alu 0xfffe
	s_mov_b32 s13, s12
	s_mov_b32 s14, s12
	;; [unrolled: 1-line block ×3, first 2 shown]
	v_add_co_u32 v9, vcc_lo, v9, v11
	s_wait_alu 0xfffd
	v_add_co_ci_u32_e64 v10, null, v10, v12, vcc_lo
	v_dual_mov_b32 v6, v5 :: v_dual_mov_b32 v11, s12
	s_delay_alu instid0(VALU_DEP_3) | instskip(SKIP_1) | instid1(VALU_DEP_4)
	v_readfirstlane_b32 s16, v9
	v_add_co_u32 v9, vcc_lo, v9, v31
	v_readfirstlane_b32 s17, v10
	s_wait_alu 0xfffd
	v_add_co_ci_u32_e64 v10, null, 0, v10, vcc_lo
	s_wait_alu 0xfffe
	v_dual_mov_b32 v12, s13 :: v_dual_mov_b32 v13, s14
	v_mov_b32_e32 v14, s15
	s_clause 0x3
	global_store_b128 v31, v[3:6], s[16:17]
	global_store_b128 v31, v[11:14], s[16:17] offset:16
	global_store_b128 v31, v[11:14], s[16:17] offset:32
	;; [unrolled: 1-line block ×3, first 2 shown]
	s_and_saveexec_b32 s7, s3
	s_cbranch_execz .LBB0_129
; %bb.122:
	v_mov_b32_e32 v11, 0
	s_mov_b32 s12, exec_lo
	s_clause 0x1
	global_load_b64 v[14:15], v11, s[8:9] offset:32 scope:SCOPE_SYS
	global_load_b64 v[3:4], v11, s[8:9] offset:40
	v_dual_mov_b32 v12, s10 :: v_dual_mov_b32 v13, s11
	s_wait_loadcnt 0x0
	v_and_b32_e32 v4, s11, v4
	v_and_b32_e32 v3, s10, v3
	s_delay_alu instid0(VALU_DEP_2) | instskip(NEXT) | instid1(VALU_DEP_2)
	v_mul_lo_u32 v4, 24, v4
	v_mul_lo_u32 v5, 0, v3
	v_mul_hi_u32 v6, 24, v3
	v_mul_lo_u32 v3, 24, v3
	s_delay_alu instid0(VALU_DEP_3) | instskip(NEXT) | instid1(VALU_DEP_2)
	v_add_nc_u32_e32 v4, v4, v5
	v_add_co_u32 v7, vcc_lo, v7, v3
	s_delay_alu instid0(VALU_DEP_2) | instskip(SKIP_1) | instid1(VALU_DEP_1)
	v_add_nc_u32_e32 v4, v4, v6
	s_wait_alu 0xfffd
	v_add_co_ci_u32_e64 v8, null, v8, v4, vcc_lo
	global_store_b64 v[7:8], v[14:15], off
	global_wb scope:SCOPE_SYS
	s_wait_storecnt 0x0
	global_atomic_cmpswap_b64 v[5:6], v11, v[12:15], s[8:9] offset:32 th:TH_ATOMIC_RETURN scope:SCOPE_SYS
	s_wait_loadcnt 0x0
	v_cmpx_ne_u64_e64 v[5:6], v[14:15]
	s_cbranch_execz .LBB0_125
; %bb.123:
	s_mov_b32 s13, 0
.LBB0_124:                              ; =>This Inner Loop Header: Depth=1
	v_dual_mov_b32 v3, s10 :: v_dual_mov_b32 v4, s11
	s_sleep 1
	global_store_b64 v[7:8], v[5:6], off
	global_wb scope:SCOPE_SYS
	s_wait_storecnt 0x0
	global_atomic_cmpswap_b64 v[3:4], v11, v[3:6], s[8:9] offset:32 th:TH_ATOMIC_RETURN scope:SCOPE_SYS
	s_wait_loadcnt 0x0
	v_cmp_eq_u64_e32 vcc_lo, v[3:4], v[5:6]
	v_dual_mov_b32 v6, v4 :: v_dual_mov_b32 v5, v3
	s_wait_alu 0xfffe
	s_or_b32 s13, vcc_lo, s13
	s_wait_alu 0xfffe
	s_and_not1_b32 exec_lo, exec_lo, s13
	s_cbranch_execnz .LBB0_124
.LBB0_125:
	s_wait_alu 0xfffe
	s_or_b32 exec_lo, exec_lo, s12
	v_mov_b32_e32 v6, 0
	s_mov_b32 s13, exec_lo
	s_mov_b32 s12, exec_lo
	s_wait_alu 0xfffe
	v_mbcnt_lo_u32_b32 v5, s13, 0
	global_load_b64 v[3:4], v6, s[8:9] offset:16
	v_cmpx_eq_u32_e32 0, v5
	s_cbranch_execz .LBB0_127
; %bb.126:
	s_bcnt1_i32_b32 s13, s13
	s_wait_alu 0xfffe
	v_mov_b32_e32 v5, s13
	global_wb scope:SCOPE_SYS
	s_wait_loadcnt 0x0
	s_wait_storecnt 0x0
	global_atomic_add_u64 v[3:4], v[5:6], off offset:8 scope:SCOPE_SYS
.LBB0_127:
	s_or_b32 exec_lo, exec_lo, s12
	s_wait_loadcnt 0x0
	global_load_b64 v[5:6], v[3:4], off offset:16
	s_wait_loadcnt 0x0
	v_cmp_eq_u64_e32 vcc_lo, 0, v[5:6]
	s_cbranch_vccnz .LBB0_129
; %bb.128:
	global_load_b32 v3, v[3:4], off offset:24
	v_mov_b32_e32 v4, 0
	s_wait_loadcnt 0x0
	v_readfirstlane_b32 s12, v3
	global_wb scope:SCOPE_SYS
	s_wait_storecnt 0x0
	global_store_b64 v[5:6], v[3:4], off scope:SCOPE_SYS
	s_and_b32 m0, s12, 0xffffff
	s_sendmsg sendmsg(MSG_INTERRUPT)
.LBB0_129:
	s_wait_alu 0xfffe
	s_or_b32 exec_lo, exec_lo, s7
	s_branch .LBB0_133
.LBB0_130:                              ;   in Loop: Header=BB0_133 Depth=1
	s_wait_alu 0xfffe
	s_or_b32 exec_lo, exec_lo, s7
	s_delay_alu instid0(VALU_DEP_1)
	v_readfirstlane_b32 s7, v3
	s_cmp_eq_u32 s7, 0
	s_cbranch_scc1 .LBB0_132
; %bb.131:                              ;   in Loop: Header=BB0_133 Depth=1
	s_sleep 1
	s_cbranch_execnz .LBB0_133
	s_branch .LBB0_135
.LBB0_132:
	s_branch .LBB0_135
.LBB0_133:                              ; =>This Inner Loop Header: Depth=1
	v_mov_b32_e32 v3, 1
	s_and_saveexec_b32 s7, s3
	s_cbranch_execz .LBB0_130
; %bb.134:                              ;   in Loop: Header=BB0_133 Depth=1
	global_load_b32 v3, v[0:1], off offset:20 scope:SCOPE_SYS
	s_wait_loadcnt 0x0
	global_inv scope:SCOPE_SYS
	v_and_b32_e32 v3, 1, v3
	s_branch .LBB0_130
.LBB0_135:
	global_load_b64 v[5:6], v[9:10], off
	s_and_saveexec_b32 s7, s3
	s_cbranch_execz .LBB0_139
; %bb.136:
	v_mov_b32_e32 v3, 0
	s_clause 0x2
	global_load_b64 v[0:1], v3, s[8:9] offset:40
	global_load_b64 v[11:12], v3, s[8:9] offset:24 scope:SCOPE_SYS
	global_load_b64 v[7:8], v3, s[8:9]
	s_wait_loadcnt 0x2
	v_readfirstlane_b32 s12, v0
	v_readfirstlane_b32 s13, v1
	s_add_nc_u64 s[14:15], s[12:13], 1
	s_wait_alu 0xfffe
	s_add_nc_u64 s[10:11], s[14:15], s[10:11]
	s_wait_alu 0xfffe
	s_cmp_eq_u64 s[10:11], 0
	s_cselect_b32 s11, s15, s11
	s_cselect_b32 s10, s14, s10
	s_wait_alu 0xfffe
	v_mov_b32_e32 v10, s11
	s_and_b64 s[12:13], s[10:11], s[12:13]
	v_mov_b32_e32 v9, s10
	s_wait_alu 0xfffe
	s_mul_u64 s[12:13], s[12:13], 24
	s_wait_loadcnt 0x0
	s_wait_alu 0xfffe
	v_add_co_u32 v0, vcc_lo, v7, s12
	s_wait_alu 0xfffd
	v_add_co_ci_u32_e64 v1, null, s13, v8, vcc_lo
	global_store_b64 v[0:1], v[11:12], off
	global_wb scope:SCOPE_SYS
	s_wait_storecnt 0x0
	global_atomic_cmpswap_b64 v[9:10], v3, v[9:12], s[8:9] offset:24 th:TH_ATOMIC_RETURN scope:SCOPE_SYS
	s_wait_loadcnt 0x0
	v_cmp_ne_u64_e32 vcc_lo, v[9:10], v[11:12]
	s_and_b32 exec_lo, exec_lo, vcc_lo
	s_cbranch_execz .LBB0_139
; %bb.137:
	s_mov_b32 s3, 0
.LBB0_138:                              ; =>This Inner Loop Header: Depth=1
	v_dual_mov_b32 v7, s10 :: v_dual_mov_b32 v8, s11
	s_sleep 1
	global_store_b64 v[0:1], v[9:10], off
	global_wb scope:SCOPE_SYS
	s_wait_storecnt 0x0
	global_atomic_cmpswap_b64 v[7:8], v3, v[7:10], s[8:9] offset:24 th:TH_ATOMIC_RETURN scope:SCOPE_SYS
	s_wait_loadcnt 0x0
	v_cmp_eq_u64_e32 vcc_lo, v[7:8], v[9:10]
	v_dual_mov_b32 v10, v8 :: v_dual_mov_b32 v9, v7
	s_wait_alu 0xfffe
	s_or_b32 s3, vcc_lo, s3
	s_wait_alu 0xfffe
	s_and_not1_b32 exec_lo, exec_lo, s3
	s_cbranch_execnz .LBB0_138
.LBB0_139:
	s_wait_alu 0xfffe
	s_or_b32 exec_lo, exec_lo, s7
.LBB0_140:
	v_readfirstlane_b32 s3, v32
	v_mov_b32_e32 v0, 0
	v_mov_b32_e32 v1, 0
	s_wait_alu 0xf1ff
	s_delay_alu instid0(VALU_DEP_3)
	v_cmp_eq_u32_e64 s3, s3, v32
	s_and_saveexec_b32 s7, s3
	s_cbranch_execz .LBB0_146
; %bb.141:
	s_wait_loadcnt 0x0
	v_mov_b32_e32 v3, 0
	s_mov_b32 s10, exec_lo
	global_load_b64 v[9:10], v3, s[8:9] offset:24 scope:SCOPE_SYS
	s_wait_loadcnt 0x0
	global_inv scope:SCOPE_SYS
	s_clause 0x1
	global_load_b64 v[0:1], v3, s[8:9] offset:40
	global_load_b64 v[7:8], v3, s[8:9]
	s_wait_loadcnt 0x1
	v_and_b32_e32 v1, v1, v10
	v_and_b32_e32 v0, v0, v9
	s_delay_alu instid0(VALU_DEP_2) | instskip(NEXT) | instid1(VALU_DEP_2)
	v_mul_lo_u32 v1, 24, v1
	v_mul_lo_u32 v4, 0, v0
	v_mul_hi_u32 v11, 24, v0
	v_mul_lo_u32 v0, 24, v0
	s_delay_alu instid0(VALU_DEP_3) | instskip(SKIP_1) | instid1(VALU_DEP_2)
	v_add_nc_u32_e32 v1, v1, v4
	s_wait_loadcnt 0x0
	v_add_co_u32 v0, vcc_lo, v7, v0
	s_delay_alu instid0(VALU_DEP_2) | instskip(SKIP_1) | instid1(VALU_DEP_1)
	v_add_nc_u32_e32 v1, v1, v11
	s_wait_alu 0xfffd
	v_add_co_ci_u32_e64 v1, null, v8, v1, vcc_lo
	global_load_b64 v[7:8], v[0:1], off scope:SCOPE_SYS
	s_wait_loadcnt 0x0
	global_atomic_cmpswap_b64 v[0:1], v3, v[7:10], s[8:9] offset:24 th:TH_ATOMIC_RETURN scope:SCOPE_SYS
	s_wait_loadcnt 0x0
	global_inv scope:SCOPE_SYS
	v_cmpx_ne_u64_e64 v[0:1], v[9:10]
	s_cbranch_execz .LBB0_145
; %bb.142:
	s_mov_b32 s11, 0
.LBB0_143:                              ; =>This Inner Loop Header: Depth=1
	s_sleep 1
	s_clause 0x1
	global_load_b64 v[7:8], v3, s[8:9] offset:40
	global_load_b64 v[11:12], v3, s[8:9]
	v_dual_mov_b32 v10, v1 :: v_dual_mov_b32 v9, v0
	s_wait_loadcnt 0x1
	s_delay_alu instid0(VALU_DEP_1) | instskip(NEXT) | instid1(VALU_DEP_2)
	v_and_b32_e32 v0, v7, v9
	v_and_b32_e32 v4, v8, v10
	s_wait_loadcnt 0x0
	s_delay_alu instid0(VALU_DEP_2) | instskip(NEXT) | instid1(VALU_DEP_1)
	v_mad_co_u64_u32 v[0:1], null, v0, 24, v[11:12]
	v_mad_co_u64_u32 v[7:8], null, v4, 24, v[1:2]
	s_delay_alu instid0(VALU_DEP_1)
	v_mov_b32_e32 v1, v7
	global_load_b64 v[7:8], v[0:1], off scope:SCOPE_SYS
	s_wait_loadcnt 0x0
	global_atomic_cmpswap_b64 v[0:1], v3, v[7:10], s[8:9] offset:24 th:TH_ATOMIC_RETURN scope:SCOPE_SYS
	s_wait_loadcnt 0x0
	global_inv scope:SCOPE_SYS
	v_cmp_eq_u64_e32 vcc_lo, v[0:1], v[9:10]
	s_wait_alu 0xfffe
	s_or_b32 s11, vcc_lo, s11
	s_wait_alu 0xfffe
	s_and_not1_b32 exec_lo, exec_lo, s11
	s_cbranch_execnz .LBB0_143
; %bb.144:
	s_or_b32 exec_lo, exec_lo, s11
.LBB0_145:
	s_wait_alu 0xfffe
	s_or_b32 exec_lo, exec_lo, s10
.LBB0_146:
	s_wait_alu 0xfffe
	s_or_b32 exec_lo, exec_lo, s7
	v_readfirstlane_b32 s10, v0
	v_mov_b32_e32 v8, 0
	v_readfirstlane_b32 s11, v1
	s_mov_b32 s7, exec_lo
	s_wait_loadcnt 0x0
	s_clause 0x1
	global_load_b64 v[3:4], v8, s[8:9] offset:40
	global_load_b128 v[9:12], v8, s[8:9]
	s_wait_loadcnt 0x1
	s_wait_alu 0xf1ff
	v_and_b32_e32 v4, s11, v4
	v_and_b32_e32 v3, s10, v3
	s_delay_alu instid0(VALU_DEP_2) | instskip(NEXT) | instid1(VALU_DEP_2)
	v_mul_lo_u32 v0, 24, v4
	v_mul_lo_u32 v1, 0, v3
	v_mul_hi_u32 v7, 24, v3
	v_mul_lo_u32 v13, 24, v3
	s_delay_alu instid0(VALU_DEP_3) | instskip(NEXT) | instid1(VALU_DEP_1)
	v_add_nc_u32_e32 v0, v0, v1
	v_add_nc_u32_e32 v1, v0, v7
	s_wait_loadcnt 0x0
	s_delay_alu instid0(VALU_DEP_3) | instskip(SKIP_1) | instid1(VALU_DEP_2)
	v_add_co_u32 v0, vcc_lo, v9, v13
	s_wait_alu 0xfffd
	v_add_co_ci_u32_e64 v1, null, v10, v1, vcc_lo
	s_and_saveexec_b32 s12, s3
	s_cbranch_execz .LBB0_148
; %bb.147:
	s_wait_alu 0xfffe
	v_dual_mov_b32 v7, s7 :: v_dual_mov_b32 v16, 1
	v_dual_mov_b32 v15, 2 :: v_dual_mov_b32 v14, v8
	s_delay_alu instid0(VALU_DEP_2)
	v_mov_b32_e32 v13, v7
	global_store_b128 v[0:1], v[13:16], off offset:8
.LBB0_148:
	s_wait_alu 0xfffe
	s_or_b32 exec_lo, exec_lo, s12
	v_lshlrev_b64_e32 v[3:4], 12, v[3:4]
	s_mov_b32 s12, 0
	s_add_co_i32 s7, s6, -1
	s_wait_alu 0xfffe
	s_mov_b32 s15, s12
	s_mov_b32 s13, s12
	;; [unrolled: 1-line block ×3, first 2 shown]
	v_add_co_u32 v3, vcc_lo, v11, v3
	s_wait_alu 0xfffd
	v_add_co_ci_u32_e64 v4, null, v12, v4, vcc_lo
	v_and_or_b32 v5, 0xffffff1f, v5, 32
	s_delay_alu instid0(VALU_DEP_3)
	v_add_co_u32 v11, vcc_lo, v3, v31
	s_wait_alu 0xfffe
	v_dual_mov_b32 v7, s7 :: v_dual_mov_b32 v16, s15
	v_readfirstlane_b32 s16, v3
	v_readfirstlane_b32 s17, v4
	s_wait_alu 0xfffd
	v_add_co_ci_u32_e64 v12, null, 0, v4, vcc_lo
	v_dual_mov_b32 v15, s14 :: v_dual_mov_b32 v14, s13
	v_mov_b32_e32 v13, s12
	s_clause 0x3
	global_store_b128 v31, v[5:8], s[16:17]
	global_store_b128 v31, v[13:16], s[16:17] offset:16
	global_store_b128 v31, v[13:16], s[16:17] offset:32
	;; [unrolled: 1-line block ×3, first 2 shown]
	s_and_saveexec_b32 s7, s3
	s_cbranch_execz .LBB0_156
; %bb.149:
	v_mov_b32_e32 v13, 0
	s_mov_b32 s12, exec_lo
	s_clause 0x1
	global_load_b64 v[16:17], v13, s[8:9] offset:32 scope:SCOPE_SYS
	global_load_b64 v[3:4], v13, s[8:9] offset:40
	v_dual_mov_b32 v14, s10 :: v_dual_mov_b32 v15, s11
	s_wait_loadcnt 0x0
	v_and_b32_e32 v4, s11, v4
	v_and_b32_e32 v3, s10, v3
	s_delay_alu instid0(VALU_DEP_2) | instskip(NEXT) | instid1(VALU_DEP_2)
	v_mul_lo_u32 v4, 24, v4
	v_mul_lo_u32 v5, 0, v3
	v_mul_hi_u32 v6, 24, v3
	v_mul_lo_u32 v3, 24, v3
	s_delay_alu instid0(VALU_DEP_3) | instskip(NEXT) | instid1(VALU_DEP_2)
	v_add_nc_u32_e32 v4, v4, v5
	v_add_co_u32 v7, vcc_lo, v9, v3
	s_delay_alu instid0(VALU_DEP_2) | instskip(SKIP_1) | instid1(VALU_DEP_1)
	v_add_nc_u32_e32 v4, v4, v6
	s_wait_alu 0xfffd
	v_add_co_ci_u32_e64 v8, null, v10, v4, vcc_lo
	global_store_b64 v[7:8], v[16:17], off
	global_wb scope:SCOPE_SYS
	s_wait_storecnt 0x0
	global_atomic_cmpswap_b64 v[5:6], v13, v[14:17], s[8:9] offset:32 th:TH_ATOMIC_RETURN scope:SCOPE_SYS
	s_wait_loadcnt 0x0
	v_cmpx_ne_u64_e64 v[5:6], v[16:17]
	s_cbranch_execz .LBB0_152
; %bb.150:
	s_mov_b32 s13, 0
.LBB0_151:                              ; =>This Inner Loop Header: Depth=1
	v_dual_mov_b32 v3, s10 :: v_dual_mov_b32 v4, s11
	s_sleep 1
	global_store_b64 v[7:8], v[5:6], off
	global_wb scope:SCOPE_SYS
	s_wait_storecnt 0x0
	global_atomic_cmpswap_b64 v[3:4], v13, v[3:6], s[8:9] offset:32 th:TH_ATOMIC_RETURN scope:SCOPE_SYS
	s_wait_loadcnt 0x0
	v_cmp_eq_u64_e32 vcc_lo, v[3:4], v[5:6]
	v_dual_mov_b32 v6, v4 :: v_dual_mov_b32 v5, v3
	s_wait_alu 0xfffe
	s_or_b32 s13, vcc_lo, s13
	s_wait_alu 0xfffe
	s_and_not1_b32 exec_lo, exec_lo, s13
	s_cbranch_execnz .LBB0_151
.LBB0_152:
	s_wait_alu 0xfffe
	s_or_b32 exec_lo, exec_lo, s12
	v_mov_b32_e32 v6, 0
	s_mov_b32 s13, exec_lo
	s_mov_b32 s12, exec_lo
	s_wait_alu 0xfffe
	v_mbcnt_lo_u32_b32 v5, s13, 0
	global_load_b64 v[3:4], v6, s[8:9] offset:16
	v_cmpx_eq_u32_e32 0, v5
	s_cbranch_execz .LBB0_154
; %bb.153:
	s_bcnt1_i32_b32 s13, s13
	s_wait_alu 0xfffe
	v_mov_b32_e32 v5, s13
	global_wb scope:SCOPE_SYS
	s_wait_loadcnt 0x0
	s_wait_storecnt 0x0
	global_atomic_add_u64 v[3:4], v[5:6], off offset:8 scope:SCOPE_SYS
.LBB0_154:
	s_or_b32 exec_lo, exec_lo, s12
	s_wait_loadcnt 0x0
	global_load_b64 v[5:6], v[3:4], off offset:16
	s_wait_loadcnt 0x0
	v_cmp_eq_u64_e32 vcc_lo, 0, v[5:6]
	s_cbranch_vccnz .LBB0_156
; %bb.155:
	global_load_b32 v3, v[3:4], off offset:24
	v_mov_b32_e32 v4, 0
	s_wait_loadcnt 0x0
	v_readfirstlane_b32 s12, v3
	global_wb scope:SCOPE_SYS
	s_wait_storecnt 0x0
	global_store_b64 v[5:6], v[3:4], off scope:SCOPE_SYS
	s_and_b32 m0, s12, 0xffffff
	s_sendmsg sendmsg(MSG_INTERRUPT)
.LBB0_156:
	s_wait_alu 0xfffe
	s_or_b32 exec_lo, exec_lo, s7
	s_branch .LBB0_160
.LBB0_157:                              ;   in Loop: Header=BB0_160 Depth=1
	s_wait_alu 0xfffe
	s_or_b32 exec_lo, exec_lo, s7
	s_delay_alu instid0(VALU_DEP_1)
	v_readfirstlane_b32 s7, v3
	s_cmp_eq_u32 s7, 0
	s_cbranch_scc1 .LBB0_159
; %bb.158:                              ;   in Loop: Header=BB0_160 Depth=1
	s_sleep 1
	s_cbranch_execnz .LBB0_160
	s_branch .LBB0_162
.LBB0_159:
	s_branch .LBB0_162
.LBB0_160:                              ; =>This Inner Loop Header: Depth=1
	v_mov_b32_e32 v3, 1
	s_and_saveexec_b32 s7, s3
	s_cbranch_execz .LBB0_157
; %bb.161:                              ;   in Loop: Header=BB0_160 Depth=1
	global_load_b32 v3, v[0:1], off offset:20 scope:SCOPE_SYS
	s_wait_loadcnt 0x0
	global_inv scope:SCOPE_SYS
	v_and_b32_e32 v3, 1, v3
	s_branch .LBB0_157
.LBB0_162:
	global_load_b64 v[3:4], v[11:12], off
	s_and_saveexec_b32 s7, s3
	s_cbranch_execz .LBB0_166
; %bb.163:
	v_mov_b32_e32 v9, 0
	s_clause 0x2
	global_load_b64 v[0:1], v9, s[8:9] offset:40
	global_load_b64 v[12:13], v9, s[8:9] offset:24 scope:SCOPE_SYS
	global_load_b64 v[5:6], v9, s[8:9]
	s_wait_loadcnt 0x2
	v_readfirstlane_b32 s12, v0
	v_readfirstlane_b32 s13, v1
	s_add_nc_u64 s[14:15], s[12:13], 1
	s_wait_alu 0xfffe
	s_add_nc_u64 s[10:11], s[14:15], s[10:11]
	s_wait_alu 0xfffe
	s_cmp_eq_u64 s[10:11], 0
	s_cselect_b32 s11, s15, s11
	s_cselect_b32 s10, s14, s10
	s_wait_alu 0xfffe
	v_mov_b32_e32 v11, s11
	s_and_b64 s[12:13], s[10:11], s[12:13]
	v_mov_b32_e32 v10, s10
	s_wait_alu 0xfffe
	s_mul_u64 s[12:13], s[12:13], 24
	s_wait_loadcnt 0x0
	s_wait_alu 0xfffe
	v_add_co_u32 v0, vcc_lo, v5, s12
	s_wait_alu 0xfffd
	v_add_co_ci_u32_e64 v1, null, s13, v6, vcc_lo
	global_store_b64 v[0:1], v[12:13], off
	global_wb scope:SCOPE_SYS
	s_wait_storecnt 0x0
	global_atomic_cmpswap_b64 v[7:8], v9, v[10:13], s[8:9] offset:24 th:TH_ATOMIC_RETURN scope:SCOPE_SYS
	s_wait_loadcnt 0x0
	v_cmp_ne_u64_e32 vcc_lo, v[7:8], v[12:13]
	s_and_b32 exec_lo, exec_lo, vcc_lo
	s_cbranch_execz .LBB0_166
; %bb.164:
	s_mov_b32 s3, 0
.LBB0_165:                              ; =>This Inner Loop Header: Depth=1
	v_dual_mov_b32 v5, s10 :: v_dual_mov_b32 v6, s11
	s_sleep 1
	global_store_b64 v[0:1], v[7:8], off
	global_wb scope:SCOPE_SYS
	s_wait_storecnt 0x0
	global_atomic_cmpswap_b64 v[5:6], v9, v[5:8], s[8:9] offset:24 th:TH_ATOMIC_RETURN scope:SCOPE_SYS
	s_wait_loadcnt 0x0
	v_cmp_eq_u64_e32 vcc_lo, v[5:6], v[7:8]
	v_dual_mov_b32 v8, v6 :: v_dual_mov_b32 v7, v5
	s_wait_alu 0xfffe
	s_or_b32 s3, vcc_lo, s3
	s_wait_alu 0xfffe
	s_and_not1_b32 exec_lo, exec_lo, s3
	s_cbranch_execnz .LBB0_165
.LBB0_166:
	s_wait_alu 0xfffe
	s_or_b32 exec_lo, exec_lo, s7
	v_readfirstlane_b32 s3, v32
	v_mov_b32_e32 v0, 0
	v_mov_b32_e32 v1, 0
	s_wait_alu 0xf1ff
	s_delay_alu instid0(VALU_DEP_3)
	v_cmp_eq_u32_e64 s3, s3, v32
	s_and_saveexec_b32 s7, s3
	s_cbranch_execz .LBB0_172
; %bb.167:
	v_mov_b32_e32 v5, 0
	s_mov_b32 s10, exec_lo
	global_load_b64 v[8:9], v5, s[8:9] offset:24 scope:SCOPE_SYS
	s_wait_loadcnt 0x0
	global_inv scope:SCOPE_SYS
	s_clause 0x1
	global_load_b64 v[0:1], v5, s[8:9] offset:40
	global_load_b64 v[6:7], v5, s[8:9]
	s_wait_loadcnt 0x1
	v_and_b32_e32 v1, v1, v9
	v_and_b32_e32 v0, v0, v8
	s_delay_alu instid0(VALU_DEP_2) | instskip(NEXT) | instid1(VALU_DEP_2)
	v_mul_lo_u32 v1, 24, v1
	v_mul_lo_u32 v10, 0, v0
	v_mul_hi_u32 v11, 24, v0
	v_mul_lo_u32 v0, 24, v0
	s_delay_alu instid0(VALU_DEP_3) | instskip(SKIP_1) | instid1(VALU_DEP_2)
	v_add_nc_u32_e32 v1, v1, v10
	s_wait_loadcnt 0x0
	v_add_co_u32 v0, vcc_lo, v6, v0
	s_delay_alu instid0(VALU_DEP_2) | instskip(SKIP_1) | instid1(VALU_DEP_1)
	v_add_nc_u32_e32 v1, v1, v11
	s_wait_alu 0xfffd
	v_add_co_ci_u32_e64 v1, null, v7, v1, vcc_lo
	global_load_b64 v[6:7], v[0:1], off scope:SCOPE_SYS
	s_wait_loadcnt 0x0
	global_atomic_cmpswap_b64 v[0:1], v5, v[6:9], s[8:9] offset:24 th:TH_ATOMIC_RETURN scope:SCOPE_SYS
	s_wait_loadcnt 0x0
	global_inv scope:SCOPE_SYS
	v_cmpx_ne_u64_e64 v[0:1], v[8:9]
	s_cbranch_execz .LBB0_171
; %bb.168:
	s_mov_b32 s11, 0
.LBB0_169:                              ; =>This Inner Loop Header: Depth=1
	s_sleep 1
	s_clause 0x1
	global_load_b64 v[6:7], v5, s[8:9] offset:40
	global_load_b64 v[10:11], v5, s[8:9]
	v_dual_mov_b32 v9, v1 :: v_dual_mov_b32 v8, v0
	s_wait_loadcnt 0x1
	s_delay_alu instid0(VALU_DEP_1) | instskip(NEXT) | instid1(VALU_DEP_2)
	v_and_b32_e32 v0, v6, v8
	v_and_b32_e32 v6, v7, v9
	s_wait_loadcnt 0x0
	s_delay_alu instid0(VALU_DEP_2) | instskip(NEXT) | instid1(VALU_DEP_1)
	v_mad_co_u64_u32 v[0:1], null, v0, 24, v[10:11]
	v_mad_co_u64_u32 v[6:7], null, v6, 24, v[1:2]
	s_delay_alu instid0(VALU_DEP_1)
	v_mov_b32_e32 v1, v6
	global_load_b64 v[6:7], v[0:1], off scope:SCOPE_SYS
	s_wait_loadcnt 0x0
	global_atomic_cmpswap_b64 v[0:1], v5, v[6:9], s[8:9] offset:24 th:TH_ATOMIC_RETURN scope:SCOPE_SYS
	s_wait_loadcnt 0x0
	global_inv scope:SCOPE_SYS
	v_cmp_eq_u64_e32 vcc_lo, v[0:1], v[8:9]
	s_wait_alu 0xfffe
	s_or_b32 s11, vcc_lo, s11
	s_wait_alu 0xfffe
	s_and_not1_b32 exec_lo, exec_lo, s11
	s_cbranch_execnz .LBB0_169
; %bb.170:
	s_or_b32 exec_lo, exec_lo, s11
.LBB0_171:
	s_wait_alu 0xfffe
	s_or_b32 exec_lo, exec_lo, s10
.LBB0_172:
	s_wait_alu 0xfffe
	s_or_b32 exec_lo, exec_lo, s7
	v_readfirstlane_b32 s10, v0
	v_mov_b32_e32 v6, 0
	v_readfirstlane_b32 s11, v1
	s_mov_b32 s7, exec_lo
	s_clause 0x1
	global_load_b64 v[11:12], v6, s[8:9] offset:40
	global_load_b128 v[7:10], v6, s[8:9]
	s_wait_loadcnt 0x1
	s_wait_alu 0xf1ff
	v_and_b32_e32 v12, s11, v12
	v_and_b32_e32 v11, s10, v11
	s_delay_alu instid0(VALU_DEP_2) | instskip(NEXT) | instid1(VALU_DEP_2)
	v_mul_lo_u32 v0, 24, v12
	v_mul_lo_u32 v1, 0, v11
	v_mul_hi_u32 v5, 24, v11
	v_mul_lo_u32 v13, 24, v11
	s_delay_alu instid0(VALU_DEP_3) | instskip(NEXT) | instid1(VALU_DEP_1)
	v_add_nc_u32_e32 v0, v0, v1
	v_add_nc_u32_e32 v1, v0, v5
	s_wait_loadcnt 0x0
	s_delay_alu instid0(VALU_DEP_3) | instskip(SKIP_1) | instid1(VALU_DEP_2)
	v_add_co_u32 v0, vcc_lo, v7, v13
	s_wait_alu 0xfffd
	v_add_co_ci_u32_e64 v1, null, v8, v1, vcc_lo
	s_and_saveexec_b32 s12, s3
	s_cbranch_execz .LBB0_174
; %bb.173:
	s_wait_alu 0xfffe
	v_dual_mov_b32 v5, s7 :: v_dual_mov_b32 v16, 1
	v_dual_mov_b32 v15, 2 :: v_dual_mov_b32 v14, v6
	s_delay_alu instid0(VALU_DEP_2)
	v_mov_b32_e32 v13, v5
	global_store_b128 v[0:1], v[13:16], off offset:8
.LBB0_174:
	s_wait_alu 0xfffe
	s_or_b32 exec_lo, exec_lo, s12
	v_lshlrev_b64_e32 v[11:12], 12, v[11:12]
	s_mov_b32 s12, 0
	v_cndmask_b32_e64 v5, -1, v33, s2
	s_wait_alu 0xfffe
	s_mov_b32 s13, s12
	s_mov_b32 s14, s12
	;; [unrolled: 1-line block ×3, first 2 shown]
	v_add_co_u32 v9, vcc_lo, v9, v11
	s_wait_alu 0xfffd
	v_add_co_ci_u32_e64 v10, null, v10, v12, vcc_lo
	v_and_or_b32 v3, 0xffffff1d, v3, 34
	s_delay_alu instid0(VALU_DEP_3) | instskip(NEXT) | instid1(VALU_DEP_3)
	v_readfirstlane_b32 s16, v9
	v_readfirstlane_b32 s17, v10
	s_wait_alu 0xfffe
	v_dual_mov_b32 v9, s12 :: v_dual_mov_b32 v10, s13
	v_dual_mov_b32 v11, s14 :: v_dual_mov_b32 v12, s15
	s_clause 0x3
	global_store_b128 v31, v[3:6], s[16:17]
	global_store_b128 v31, v[9:12], s[16:17] offset:16
	global_store_b128 v31, v[9:12], s[16:17] offset:32
	;; [unrolled: 1-line block ×3, first 2 shown]
	s_and_saveexec_b32 s2, s3
	s_cbranch_execz .LBB0_181
; %bb.175:
	v_mov_b32_e32 v9, 0
	s_mov_b32 s7, exec_lo
	s_clause 0x1
	global_load_b64 v[12:13], v9, s[8:9] offset:32 scope:SCOPE_SYS
	global_load_b64 v[3:4], v9, s[8:9] offset:40
	v_dual_mov_b32 v10, s10 :: v_dual_mov_b32 v11, s11
	s_wait_loadcnt 0x0
	v_and_b32_e32 v4, s11, v4
	v_and_b32_e32 v3, s10, v3
	s_delay_alu instid0(VALU_DEP_2) | instskip(NEXT) | instid1(VALU_DEP_2)
	v_mul_lo_u32 v4, 24, v4
	v_mul_lo_u32 v5, 0, v3
	v_mul_hi_u32 v6, 24, v3
	v_mul_lo_u32 v3, 24, v3
	s_delay_alu instid0(VALU_DEP_3) | instskip(NEXT) | instid1(VALU_DEP_2)
	v_add_nc_u32_e32 v4, v4, v5
	v_add_co_u32 v7, vcc_lo, v7, v3
	s_delay_alu instid0(VALU_DEP_2) | instskip(SKIP_1) | instid1(VALU_DEP_1)
	v_add_nc_u32_e32 v4, v4, v6
	s_wait_alu 0xfffd
	v_add_co_ci_u32_e64 v8, null, v8, v4, vcc_lo
	global_store_b64 v[7:8], v[12:13], off
	global_wb scope:SCOPE_SYS
	s_wait_storecnt 0x0
	global_atomic_cmpswap_b64 v[5:6], v9, v[10:13], s[8:9] offset:32 th:TH_ATOMIC_RETURN scope:SCOPE_SYS
	s_wait_loadcnt 0x0
	v_cmpx_ne_u64_e64 v[5:6], v[12:13]
	s_cbranch_execz .LBB0_177
.LBB0_176:                              ; =>This Inner Loop Header: Depth=1
	v_dual_mov_b32 v3, s10 :: v_dual_mov_b32 v4, s11
	s_sleep 1
	global_store_b64 v[7:8], v[5:6], off
	global_wb scope:SCOPE_SYS
	s_wait_storecnt 0x0
	global_atomic_cmpswap_b64 v[3:4], v9, v[3:6], s[8:9] offset:32 th:TH_ATOMIC_RETURN scope:SCOPE_SYS
	s_wait_loadcnt 0x0
	v_cmp_eq_u64_e32 vcc_lo, v[3:4], v[5:6]
	v_dual_mov_b32 v6, v4 :: v_dual_mov_b32 v5, v3
	s_or_b32 s12, vcc_lo, s12
	s_wait_alu 0xfffe
	s_and_not1_b32 exec_lo, exec_lo, s12
	s_cbranch_execnz .LBB0_176
.LBB0_177:
	s_wait_alu 0xfffe
	s_or_b32 exec_lo, exec_lo, s7
	v_mov_b32_e32 v6, 0
	s_mov_b32 s12, exec_lo
	s_mov_b32 s7, exec_lo
	s_wait_alu 0xfffe
	v_mbcnt_lo_u32_b32 v5, s12, 0
	global_load_b64 v[3:4], v6, s[8:9] offset:16
	v_cmpx_eq_u32_e32 0, v5
	s_cbranch_execz .LBB0_179
; %bb.178:
	s_bcnt1_i32_b32 s12, s12
	s_wait_alu 0xfffe
	v_mov_b32_e32 v5, s12
	global_wb scope:SCOPE_SYS
	s_wait_loadcnt 0x0
	s_wait_storecnt 0x0
	global_atomic_add_u64 v[3:4], v[5:6], off offset:8 scope:SCOPE_SYS
.LBB0_179:
	s_or_b32 exec_lo, exec_lo, s7
	s_wait_loadcnt 0x0
	global_load_b64 v[5:6], v[3:4], off offset:16
	s_wait_loadcnt 0x0
	v_cmp_eq_u64_e32 vcc_lo, 0, v[5:6]
	s_cbranch_vccnz .LBB0_181
; %bb.180:
	global_load_b32 v3, v[3:4], off offset:24
	v_mov_b32_e32 v4, 0
	s_wait_loadcnt 0x0
	v_readfirstlane_b32 s7, v3
	global_wb scope:SCOPE_SYS
	s_wait_storecnt 0x0
	global_store_b64 v[5:6], v[3:4], off scope:SCOPE_SYS
	s_and_b32 m0, s7, 0xffffff
	s_sendmsg sendmsg(MSG_INTERRUPT)
.LBB0_181:
	s_wait_alu 0xfffe
	s_or_b32 exec_lo, exec_lo, s2
	s_branch .LBB0_185
.LBB0_182:                              ;   in Loop: Header=BB0_185 Depth=1
	s_wait_alu 0xfffe
	s_or_b32 exec_lo, exec_lo, s2
	s_delay_alu instid0(VALU_DEP_1)
	v_readfirstlane_b32 s2, v3
	s_cmp_eq_u32 s2, 0
	s_cbranch_scc1 .LBB0_184
; %bb.183:                              ;   in Loop: Header=BB0_185 Depth=1
	s_sleep 1
	s_cbranch_execnz .LBB0_185
	s_branch .LBB0_187
.LBB0_184:
	s_branch .LBB0_187
.LBB0_185:                              ; =>This Inner Loop Header: Depth=1
	v_mov_b32_e32 v3, 1
	s_and_saveexec_b32 s2, s3
	s_cbranch_execz .LBB0_182
; %bb.186:                              ;   in Loop: Header=BB0_185 Depth=1
	global_load_b32 v3, v[0:1], off offset:20 scope:SCOPE_SYS
	s_wait_loadcnt 0x0
	global_inv scope:SCOPE_SYS
	v_and_b32_e32 v3, 1, v3
	s_branch .LBB0_182
.LBB0_187:
	s_and_saveexec_b32 s7, s3
	s_cbranch_execz .LBB0_191
; %bb.188:
	v_mov_b32_e32 v7, 0
	s_clause 0x2
	global_load_b64 v[0:1], v7, s[8:9] offset:40
	global_load_b64 v[10:11], v7, s[8:9] offset:24 scope:SCOPE_SYS
	global_load_b64 v[3:4], v7, s[8:9]
	s_wait_loadcnt 0x2
	v_readfirstlane_b32 s12, v0
	v_readfirstlane_b32 s13, v1
	s_add_nc_u64 s[2:3], s[12:13], 1
	s_wait_alu 0xfffe
	s_add_nc_u64 s[10:11], s[2:3], s[10:11]
	s_wait_alu 0xfffe
	s_cmp_eq_u64 s[10:11], 0
	s_cselect_b32 s3, s3, s11
	s_cselect_b32 s2, s2, s10
	s_wait_alu 0xfffe
	v_mov_b32_e32 v9, s3
	s_and_b64 s[10:11], s[2:3], s[12:13]
	v_mov_b32_e32 v8, s2
	s_wait_alu 0xfffe
	s_mul_u64 s[10:11], s[10:11], 24
	s_wait_loadcnt 0x0
	s_wait_alu 0xfffe
	v_add_co_u32 v0, vcc_lo, v3, s10
	s_wait_alu 0xfffd
	v_add_co_ci_u32_e64 v1, null, s11, v4, vcc_lo
	global_store_b64 v[0:1], v[10:11], off
	global_wb scope:SCOPE_SYS
	s_wait_storecnt 0x0
	global_atomic_cmpswap_b64 v[5:6], v7, v[8:11], s[8:9] offset:24 th:TH_ATOMIC_RETURN scope:SCOPE_SYS
	s_wait_loadcnt 0x0
	v_cmp_ne_u64_e32 vcc_lo, v[5:6], v[10:11]
	s_and_b32 exec_lo, exec_lo, vcc_lo
	s_cbranch_execz .LBB0_191
; %bb.189:
	s_mov_b32 s10, 0
.LBB0_190:                              ; =>This Inner Loop Header: Depth=1
	v_dual_mov_b32 v3, s2 :: v_dual_mov_b32 v4, s3
	s_sleep 1
	global_store_b64 v[0:1], v[5:6], off
	global_wb scope:SCOPE_SYS
	s_wait_storecnt 0x0
	global_atomic_cmpswap_b64 v[3:4], v7, v[3:6], s[8:9] offset:24 th:TH_ATOMIC_RETURN scope:SCOPE_SYS
	s_wait_loadcnt 0x0
	v_cmp_eq_u64_e32 vcc_lo, v[3:4], v[5:6]
	v_dual_mov_b32 v6, v4 :: v_dual_mov_b32 v5, v3
	s_wait_alu 0xfffe
	s_or_b32 s10, vcc_lo, s10
	s_wait_alu 0xfffe
	s_and_not1_b32 exec_lo, exec_lo, s10
	s_cbranch_execnz .LBB0_190
.LBB0_191:
	s_wait_alu 0xfffe
	s_or_b32 exec_lo, exec_lo, s7
	s_cvt_f32_u32 s2, s22
	v_readfirstlane_b32 s7, v32
	s_sub_co_i32 s10, 0, s22
	s_wait_alu 0xfffe
	v_rcp_iflag_f32_e32 v0, s2
	s_delay_alu instid0(TRANS32_DEP_1) | instskip(SKIP_4) | instid1(SALU_CYCLE_2)
	v_readfirstlane_b32 s2, v0
	v_mov_b32_e32 v0, 0
	v_mov_b32_e32 v1, 0
	s_mul_f32 s2, s2, 0x4f7ffffe
	s_wait_alu 0xfffe
	s_cvt_u32_f32 s3, s2
	v_cmp_eq_u32_e64 s2, s7, v32
	s_mov_b32 s7, 0
	s_wait_alu 0xfffe
	s_mul_i32 s10, s10, s3
	s_wait_alu 0xfffe
	s_mul_hi_u32 s10, s3, s10
	s_and_saveexec_b32 s11, s2
	s_cbranch_execz .LBB0_197
; %bb.192:
	v_mov_b32_e32 v3, 0
	s_mov_b32 s12, exec_lo
	global_load_b64 v[6:7], v3, s[8:9] offset:24 scope:SCOPE_SYS
	s_wait_loadcnt 0x0
	global_inv scope:SCOPE_SYS
	s_clause 0x1
	global_load_b64 v[0:1], v3, s[8:9] offset:40
	global_load_b64 v[4:5], v3, s[8:9]
	s_wait_loadcnt 0x1
	v_and_b32_e32 v1, v1, v7
	v_and_b32_e32 v0, v0, v6
	s_delay_alu instid0(VALU_DEP_2) | instskip(NEXT) | instid1(VALU_DEP_2)
	v_mul_lo_u32 v1, 24, v1
	v_mul_lo_u32 v8, 0, v0
	v_mul_hi_u32 v9, 24, v0
	v_mul_lo_u32 v0, 24, v0
	s_delay_alu instid0(VALU_DEP_3) | instskip(SKIP_1) | instid1(VALU_DEP_2)
	v_add_nc_u32_e32 v1, v1, v8
	s_wait_loadcnt 0x0
	v_add_co_u32 v0, vcc_lo, v4, v0
	s_delay_alu instid0(VALU_DEP_2) | instskip(SKIP_1) | instid1(VALU_DEP_1)
	v_add_nc_u32_e32 v1, v1, v9
	s_wait_alu 0xfffd
	v_add_co_ci_u32_e64 v1, null, v5, v1, vcc_lo
	global_load_b64 v[4:5], v[0:1], off scope:SCOPE_SYS
	s_wait_loadcnt 0x0
	global_atomic_cmpswap_b64 v[0:1], v3, v[4:7], s[8:9] offset:24 th:TH_ATOMIC_RETURN scope:SCOPE_SYS
	s_wait_loadcnt 0x0
	global_inv scope:SCOPE_SYS
	v_cmpx_ne_u64_e64 v[0:1], v[6:7]
	s_cbranch_execz .LBB0_196
; %bb.193:
	s_mov_b32 s13, 0
.LBB0_194:                              ; =>This Inner Loop Header: Depth=1
	s_sleep 1
	s_clause 0x1
	global_load_b64 v[4:5], v3, s[8:9] offset:40
	global_load_b64 v[8:9], v3, s[8:9]
	v_dual_mov_b32 v7, v1 :: v_dual_mov_b32 v6, v0
	s_wait_loadcnt 0x1
	s_delay_alu instid0(VALU_DEP_1) | instskip(NEXT) | instid1(VALU_DEP_2)
	v_and_b32_e32 v0, v4, v6
	v_and_b32_e32 v4, v5, v7
	s_wait_loadcnt 0x0
	s_delay_alu instid0(VALU_DEP_2) | instskip(NEXT) | instid1(VALU_DEP_1)
	v_mad_co_u64_u32 v[0:1], null, v0, 24, v[8:9]
	v_mad_co_u64_u32 v[4:5], null, v4, 24, v[1:2]
	s_delay_alu instid0(VALU_DEP_1)
	v_mov_b32_e32 v1, v4
	global_load_b64 v[4:5], v[0:1], off scope:SCOPE_SYS
	s_wait_loadcnt 0x0
	global_atomic_cmpswap_b64 v[0:1], v3, v[4:7], s[8:9] offset:24 th:TH_ATOMIC_RETURN scope:SCOPE_SYS
	s_wait_loadcnt 0x0
	global_inv scope:SCOPE_SYS
	v_cmp_eq_u64_e32 vcc_lo, v[0:1], v[6:7]
	s_wait_alu 0xfffe
	s_or_b32 s13, vcc_lo, s13
	s_wait_alu 0xfffe
	s_and_not1_b32 exec_lo, exec_lo, s13
	s_cbranch_execnz .LBB0_194
; %bb.195:
	s_or_b32 exec_lo, exec_lo, s13
.LBB0_196:
	s_wait_alu 0xfffe
	s_or_b32 exec_lo, exec_lo, s12
.LBB0_197:
	s_wait_alu 0xfffe
	s_or_b32 exec_lo, exec_lo, s11
	v_readfirstlane_b32 s12, v0
	v_mov_b32_e32 v8, 0
	v_readfirstlane_b32 s13, v1
	s_mov_b32 s11, exec_lo
	s_add_co_i32 s10, s3, s10
	s_clause 0x1
	global_load_b64 v[9:10], v8, s[8:9] offset:40
	global_load_b128 v[3:6], v8, s[8:9]
	s_wait_loadcnt 0x1
	v_and_b32_e32 v12, s13, v10
	v_and_b32_e32 v11, s12, v9
	s_delay_alu instid0(VALU_DEP_2) | instskip(NEXT) | instid1(VALU_DEP_2)
	v_mul_lo_u32 v0, 24, v12
	v_mul_lo_u32 v1, 0, v11
	v_mul_hi_u32 v7, 24, v11
	v_mul_lo_u32 v9, 24, v11
	s_delay_alu instid0(VALU_DEP_3) | instskip(NEXT) | instid1(VALU_DEP_1)
	v_add_nc_u32_e32 v0, v0, v1
	v_add_nc_u32_e32 v1, v0, v7
	s_wait_loadcnt 0x0
	s_delay_alu instid0(VALU_DEP_3) | instskip(SKIP_1) | instid1(VALU_DEP_2)
	v_add_co_u32 v0, vcc_lo, v3, v9
	s_wait_alu 0xfffd
	v_add_co_ci_u32_e64 v1, null, v4, v1, vcc_lo
	s_and_saveexec_b32 s3, s2
	s_cbranch_execz .LBB0_199
; %bb.198:
	s_wait_alu 0xfffe
	v_dual_mov_b32 v7, s11 :: v_dual_mov_b32 v10, 1
	v_mov_b32_e32 v9, 2
	global_store_b128 v[0:1], v[7:10], off offset:8
.LBB0_199:
	s_wait_alu 0xfffe
	s_or_b32 exec_lo, exec_lo, s3
	v_lshlrev_b64_e32 v[10:11], 12, v[11:12]
	s_mov_b32 s16, 0
	v_mov_b32_e32 v7, 33
	s_wait_alu 0xfffe
	s_mov_b32 s17, s16
	s_mov_b32 s18, s16
	;; [unrolled: 1-line block ×3, first 2 shown]
	v_add_co_u32 v5, vcc_lo, v5, v10
	s_wait_alu 0xfffd
	v_add_co_ci_u32_e64 v6, null, v6, v11, vcc_lo
	v_mov_b32_e32 v9, v8
	s_delay_alu instid0(VALU_DEP_3)
	v_add_co_u32 v11, vcc_lo, v5, v31
	v_mov_b32_e32 v10, v8
	v_readfirstlane_b32 s14, v5
	v_readfirstlane_b32 s15, v6
	s_wait_alu 0xfffe
	v_dual_mov_b32 v13, s16 :: v_dual_mov_b32 v16, s19
	s_wait_alu 0xfffd
	v_add_co_ci_u32_e64 v12, null, 0, v6, vcc_lo
	v_dual_mov_b32 v14, s17 :: v_dual_mov_b32 v15, s18
	s_mov_b32 s11, s7
	s_clause 0x3
	global_store_b128 v31, v[7:10], s[14:15]
	global_store_b128 v31, v[13:16], s[14:15] offset:16
	global_store_b128 v31, v[13:16], s[14:15] offset:32
	global_store_b128 v31, v[13:16], s[14:15] offset:48
	s_and_saveexec_b32 s3, s2
	s_cbranch_execz .LBB0_207
; %bb.200:
	v_mov_b32_e32 v9, 0
	s_mov_b32 s14, exec_lo
	s_clause 0x1
	global_load_b64 v[15:16], v9, s[8:9] offset:32 scope:SCOPE_SYS
	global_load_b64 v[5:6], v9, s[8:9] offset:40
	v_dual_mov_b32 v14, s13 :: v_dual_mov_b32 v13, s12
	s_wait_loadcnt 0x0
	v_and_b32_e32 v6, s13, v6
	v_and_b32_e32 v5, s12, v5
	s_delay_alu instid0(VALU_DEP_2) | instskip(NEXT) | instid1(VALU_DEP_2)
	v_mul_lo_u32 v6, 24, v6
	v_mul_lo_u32 v7, 0, v5
	v_mul_hi_u32 v8, 24, v5
	v_mul_lo_u32 v5, 24, v5
	s_delay_alu instid0(VALU_DEP_3) | instskip(NEXT) | instid1(VALU_DEP_2)
	v_add_nc_u32_e32 v6, v6, v7
	v_add_co_u32 v7, vcc_lo, v3, v5
	s_delay_alu instid0(VALU_DEP_2) | instskip(SKIP_1) | instid1(VALU_DEP_1)
	v_add_nc_u32_e32 v6, v6, v8
	s_wait_alu 0xfffd
	v_add_co_ci_u32_e64 v8, null, v4, v6, vcc_lo
	global_store_b64 v[7:8], v[15:16], off
	global_wb scope:SCOPE_SYS
	s_wait_storecnt 0x0
	global_atomic_cmpswap_b64 v[5:6], v9, v[13:16], s[8:9] offset:32 th:TH_ATOMIC_RETURN scope:SCOPE_SYS
	s_wait_loadcnt 0x0
	v_cmpx_ne_u64_e64 v[5:6], v[15:16]
	s_cbranch_execz .LBB0_203
; %bb.201:
	s_mov_b32 s15, 0
.LBB0_202:                              ; =>This Inner Loop Header: Depth=1
	v_dual_mov_b32 v3, s12 :: v_dual_mov_b32 v4, s13
	s_sleep 1
	global_store_b64 v[7:8], v[5:6], off
	global_wb scope:SCOPE_SYS
	s_wait_storecnt 0x0
	global_atomic_cmpswap_b64 v[3:4], v9, v[3:6], s[8:9] offset:32 th:TH_ATOMIC_RETURN scope:SCOPE_SYS
	s_wait_loadcnt 0x0
	v_cmp_eq_u64_e32 vcc_lo, v[3:4], v[5:6]
	v_dual_mov_b32 v6, v4 :: v_dual_mov_b32 v5, v3
	s_wait_alu 0xfffe
	s_or_b32 s15, vcc_lo, s15
	s_wait_alu 0xfffe
	s_and_not1_b32 exec_lo, exec_lo, s15
	s_cbranch_execnz .LBB0_202
.LBB0_203:
	s_wait_alu 0xfffe
	s_or_b32 exec_lo, exec_lo, s14
	v_mov_b32_e32 v6, 0
	s_mov_b32 s15, exec_lo
	s_mov_b32 s14, exec_lo
	s_wait_alu 0xfffe
	v_mbcnt_lo_u32_b32 v5, s15, 0
	global_load_b64 v[3:4], v6, s[8:9] offset:16
	v_cmpx_eq_u32_e32 0, v5
	s_cbranch_execz .LBB0_205
; %bb.204:
	s_bcnt1_i32_b32 s15, s15
	s_wait_alu 0xfffe
	v_mov_b32_e32 v5, s15
	global_wb scope:SCOPE_SYS
	s_wait_loadcnt 0x0
	s_wait_storecnt 0x0
	global_atomic_add_u64 v[3:4], v[5:6], off offset:8 scope:SCOPE_SYS
.LBB0_205:
	s_or_b32 exec_lo, exec_lo, s14
	s_wait_loadcnt 0x0
	global_load_b64 v[5:6], v[3:4], off offset:16
	s_wait_loadcnt 0x0
	v_cmp_eq_u64_e32 vcc_lo, 0, v[5:6]
	s_cbranch_vccnz .LBB0_207
; %bb.206:
	global_load_b32 v3, v[3:4], off offset:24
	v_mov_b32_e32 v4, 0
	s_wait_loadcnt 0x0
	v_readfirstlane_b32 s14, v3
	global_wb scope:SCOPE_SYS
	s_wait_storecnt 0x0
	global_store_b64 v[5:6], v[3:4], off scope:SCOPE_SYS
	s_and_b32 m0, s14, 0xffffff
	s_sendmsg sendmsg(MSG_INTERRUPT)
.LBB0_207:
	s_wait_alu 0xfffe
	s_or_b32 exec_lo, exec_lo, s3
	s_mul_u64 s[10:11], s[6:7], s[10:11]
	s_branch .LBB0_211
.LBB0_208:                              ;   in Loop: Header=BB0_211 Depth=1
	s_wait_alu 0xfffe
	s_or_b32 exec_lo, exec_lo, s3
	s_delay_alu instid0(VALU_DEP_1)
	v_readfirstlane_b32 s3, v3
	s_cmp_eq_u32 s3, 0
	s_cbranch_scc1 .LBB0_210
; %bb.209:                              ;   in Loop: Header=BB0_211 Depth=1
	s_sleep 1
	s_cbranch_execnz .LBB0_211
	s_branch .LBB0_213
.LBB0_210:
	s_branch .LBB0_213
.LBB0_211:                              ; =>This Inner Loop Header: Depth=1
	v_mov_b32_e32 v3, 1
	s_and_saveexec_b32 s3, s2
	s_cbranch_execz .LBB0_208
; %bb.212:                              ;   in Loop: Header=BB0_211 Depth=1
	global_load_b32 v3, v[0:1], off offset:20 scope:SCOPE_SYS
	s_wait_loadcnt 0x0
	global_inv scope:SCOPE_SYS
	v_and_b32_e32 v3, 1, v3
	s_branch .LBB0_208
.LBB0_213:
	global_load_b64 v[3:4], v[11:12], off
	s_and_saveexec_b32 s7, s2
	s_cbranch_execz .LBB0_217
; %bb.214:
	v_mov_b32_e32 v9, 0
	s_clause 0x2
	global_load_b64 v[0:1], v9, s[8:9] offset:40
	global_load_b64 v[12:13], v9, s[8:9] offset:24 scope:SCOPE_SYS
	global_load_b64 v[5:6], v9, s[8:9]
	s_wait_loadcnt 0x2
	v_readfirstlane_b32 s14, v0
	v_readfirstlane_b32 s15, v1
	s_add_nc_u64 s[2:3], s[14:15], 1
	s_wait_alu 0xfffe
	s_add_nc_u64 s[12:13], s[2:3], s[12:13]
	s_wait_alu 0xfffe
	s_cmp_eq_u64 s[12:13], 0
	s_cselect_b32 s3, s3, s13
	s_cselect_b32 s2, s2, s12
	s_wait_alu 0xfffe
	v_mov_b32_e32 v11, s3
	s_and_b64 s[12:13], s[2:3], s[14:15]
	v_mov_b32_e32 v10, s2
	s_wait_alu 0xfffe
	s_mul_u64 s[12:13], s[12:13], 24
	s_wait_loadcnt 0x0
	s_wait_alu 0xfffe
	v_add_co_u32 v0, vcc_lo, v5, s12
	s_wait_alu 0xfffd
	v_add_co_ci_u32_e64 v1, null, s13, v6, vcc_lo
	global_store_b64 v[0:1], v[12:13], off
	global_wb scope:SCOPE_SYS
	s_wait_storecnt 0x0
	global_atomic_cmpswap_b64 v[7:8], v9, v[10:13], s[8:9] offset:24 th:TH_ATOMIC_RETURN scope:SCOPE_SYS
	s_wait_loadcnt 0x0
	v_cmp_ne_u64_e32 vcc_lo, v[7:8], v[12:13]
	s_and_b32 exec_lo, exec_lo, vcc_lo
	s_cbranch_execz .LBB0_217
; %bb.215:
	s_mov_b32 s10, 0
.LBB0_216:                              ; =>This Inner Loop Header: Depth=1
	v_dual_mov_b32 v5, s2 :: v_dual_mov_b32 v6, s3
	s_sleep 1
	global_store_b64 v[0:1], v[7:8], off
	global_wb scope:SCOPE_SYS
	s_wait_storecnt 0x0
	global_atomic_cmpswap_b64 v[5:6], v9, v[5:8], s[8:9] offset:24 th:TH_ATOMIC_RETURN scope:SCOPE_SYS
	s_wait_loadcnt 0x0
	v_cmp_eq_u64_e32 vcc_lo, v[5:6], v[7:8]
	v_dual_mov_b32 v8, v6 :: v_dual_mov_b32 v7, v5
	s_wait_alu 0xfffe
	s_or_b32 s10, vcc_lo, s10
	s_wait_alu 0xfffe
	s_and_not1_b32 exec_lo, exec_lo, s10
	s_cbranch_execnz .LBB0_216
.LBB0_217:
	s_wait_alu 0xfffe
	s_or_b32 exec_lo, exec_lo, s7
	s_getpc_b64 s[12:13]
	s_wait_alu 0xfffe
	s_sext_i32_i16 s13, s13
	s_add_co_u32 s12, s12, .str.1@rel32@lo+12
	s_wait_alu 0xfffe
	s_add_co_ci_u32 s13, s13, .str.1@rel32@hi+24
	s_wait_alu 0xfffe
	s_cmp_lg_u64 s[12:13], 0
	s_cbranch_scc0 .LBB0_296
; %bb.218:
	s_wait_loadcnt 0x0
	v_dual_mov_b32 v10, 0 :: v_dual_and_b32 v33, 2, v3
	v_dual_mov_b32 v6, v4 :: v_dual_and_b32 v5, -3, v3
	v_dual_mov_b32 v11, 2 :: v_dual_mov_b32 v12, 1
	s_mov_b64 s[14:15], 48
	s_branch .LBB0_220
.LBB0_219:                              ;   in Loop: Header=BB0_220 Depth=1
	s_wait_alu 0xfffe
	s_or_b32 exec_lo, exec_lo, s7
	s_sub_nc_u64 s[14:15], s[14:15], s[16:17]
	s_add_nc_u64 s[12:13], s[12:13], s[16:17]
	s_wait_alu 0xfffe
	s_cmp_lg_u64 s[14:15], 0
	s_cbranch_scc0 .LBB0_295
.LBB0_220:                              ; =>This Loop Header: Depth=1
                                        ;     Child Loop BB0_223 Depth 2
                                        ;     Child Loop BB0_230 Depth 2
	;; [unrolled: 1-line block ×11, first 2 shown]
	s_wait_alu 0xfffe
	v_cmp_lt_u64_e64 s2, s[14:15], 56
	v_cmp_gt_u64_e64 s3, s[14:15], 7
	s_and_b32 s2, s2, exec_lo
	s_cselect_b32 s17, s15, 0
	s_cselect_b32 s16, s14, 56
	s_and_b32 vcc_lo, exec_lo, s3
	s_wait_alu 0xfffe
	s_cbranch_vccnz .LBB0_225
; %bb.221:                              ;   in Loop: Header=BB0_220 Depth=1
	v_mov_b32_e32 v7, 0
	v_mov_b32_e32 v8, 0
	s_cmp_eq_u64 s[14:15], 0
	s_cbranch_scc1 .LBB0_224
; %bb.222:                              ;   in Loop: Header=BB0_220 Depth=1
	s_mov_b64 s[2:3], 0
	s_mov_b64 s[18:19], 0
.LBB0_223:                              ;   Parent Loop BB0_220 Depth=1
                                        ; =>  This Inner Loop Header: Depth=2
	s_wait_alu 0xfffe
	s_add_nc_u64 s[20:21], s[12:13], s[18:19]
	s_add_nc_u64 s[18:19], s[18:19], 1
	global_load_u8 v0, v10, s[20:21]
	s_wait_alu 0xfffe
	s_cmp_lg_u32 s16, s18
	s_wait_loadcnt 0x0
	v_and_b32_e32 v9, 0xffff, v0
	s_delay_alu instid0(VALU_DEP_1) | instskip(SKIP_1) | instid1(VALU_DEP_1)
	v_lshlrev_b64_e32 v[0:1], s2, v[9:10]
	s_add_nc_u64 s[2:3], s[2:3], 8
	v_or_b32_e32 v7, v0, v7
	s_delay_alu instid0(VALU_DEP_2)
	v_or_b32_e32 v8, v1, v8
	s_cbranch_scc1 .LBB0_223
.LBB0_224:                              ;   in Loop: Header=BB0_220 Depth=1
	s_mov_b64 s[18:19], s[12:13]
	s_mov_b32 s7, 0
	s_cbranch_execz .LBB0_226
	s_branch .LBB0_227
.LBB0_225:                              ;   in Loop: Header=BB0_220 Depth=1
	s_add_nc_u64 s[18:19], s[12:13], 8
	s_mov_b32 s7, 0
.LBB0_226:                              ;   in Loop: Header=BB0_220 Depth=1
	global_load_b64 v[7:8], v10, s[12:13]
	s_add_co_i32 s7, s16, -8
.LBB0_227:                              ;   in Loop: Header=BB0_220 Depth=1
	s_wait_alu 0xfffe
	s_cmp_gt_u32 s7, 7
	s_cbranch_scc1 .LBB0_232
; %bb.228:                              ;   in Loop: Header=BB0_220 Depth=1
	v_mov_b32_e32 v13, 0
	v_mov_b32_e32 v14, 0
	s_cmp_eq_u32 s7, 0
	s_cbranch_scc1 .LBB0_231
; %bb.229:                              ;   in Loop: Header=BB0_220 Depth=1
	s_mov_b64 s[2:3], 0
	s_mov_b64 s[20:21], 0
.LBB0_230:                              ;   Parent Loop BB0_220 Depth=1
                                        ; =>  This Inner Loop Header: Depth=2
	s_delay_alu instid0(SALU_CYCLE_1)
	s_add_nc_u64 s[26:27], s[18:19], s[20:21]
	s_add_nc_u64 s[20:21], s[20:21], 1
	global_load_u8 v0, v10, s[26:27]
	s_cmp_lg_u32 s7, s20
	s_wait_loadcnt 0x0
	v_and_b32_e32 v9, 0xffff, v0
	s_wait_alu 0xfffe
	s_delay_alu instid0(VALU_DEP_1) | instskip(SKIP_1) | instid1(VALU_DEP_1)
	v_lshlrev_b64_e32 v[0:1], s2, v[9:10]
	s_add_nc_u64 s[2:3], s[2:3], 8
	v_or_b32_e32 v13, v0, v13
	s_delay_alu instid0(VALU_DEP_2)
	v_or_b32_e32 v14, v1, v14
	s_cbranch_scc1 .LBB0_230
.LBB0_231:                              ;   in Loop: Header=BB0_220 Depth=1
	s_mov_b64 s[2:3], s[18:19]
	s_mov_b32 s10, 0
	s_cbranch_execz .LBB0_233
	s_branch .LBB0_234
.LBB0_232:                              ;   in Loop: Header=BB0_220 Depth=1
	s_add_nc_u64 s[2:3], s[18:19], 8
                                        ; implicit-def: $vgpr13_vgpr14
	s_mov_b32 s10, 0
.LBB0_233:                              ;   in Loop: Header=BB0_220 Depth=1
	global_load_b64 v[13:14], v10, s[18:19]
	s_add_co_i32 s10, s7, -8
.LBB0_234:                              ;   in Loop: Header=BB0_220 Depth=1
	s_wait_alu 0xfffe
	s_cmp_gt_u32 s10, 7
	s_cbranch_scc1 .LBB0_239
; %bb.235:                              ;   in Loop: Header=BB0_220 Depth=1
	v_mov_b32_e32 v15, 0
	v_mov_b32_e32 v16, 0
	s_cmp_eq_u32 s10, 0
	s_cbranch_scc1 .LBB0_238
; %bb.236:                              ;   in Loop: Header=BB0_220 Depth=1
	s_mov_b64 s[18:19], 0
	s_mov_b64 s[20:21], 0
.LBB0_237:                              ;   Parent Loop BB0_220 Depth=1
                                        ; =>  This Inner Loop Header: Depth=2
	s_delay_alu instid0(SALU_CYCLE_1)
	s_add_nc_u64 s[26:27], s[2:3], s[20:21]
	s_add_nc_u64 s[20:21], s[20:21], 1
	global_load_u8 v0, v10, s[26:27]
	s_cmp_lg_u32 s10, s20
	s_wait_loadcnt 0x0
	v_and_b32_e32 v9, 0xffff, v0
	s_wait_alu 0xfffe
	s_delay_alu instid0(VALU_DEP_1) | instskip(SKIP_1) | instid1(VALU_DEP_1)
	v_lshlrev_b64_e32 v[0:1], s18, v[9:10]
	s_add_nc_u64 s[18:19], s[18:19], 8
	v_or_b32_e32 v15, v0, v15
	s_delay_alu instid0(VALU_DEP_2)
	v_or_b32_e32 v16, v1, v16
	s_cbranch_scc1 .LBB0_237
.LBB0_238:                              ;   in Loop: Header=BB0_220 Depth=1
	s_mov_b64 s[18:19], s[2:3]
	s_mov_b32 s7, 0
	s_cbranch_execz .LBB0_240
	s_branch .LBB0_241
.LBB0_239:                              ;   in Loop: Header=BB0_220 Depth=1
	s_add_nc_u64 s[18:19], s[2:3], 8
	s_mov_b32 s7, 0
.LBB0_240:                              ;   in Loop: Header=BB0_220 Depth=1
	global_load_b64 v[15:16], v10, s[2:3]
	s_add_co_i32 s7, s10, -8
.LBB0_241:                              ;   in Loop: Header=BB0_220 Depth=1
	s_wait_alu 0xfffe
	s_cmp_gt_u32 s7, 7
	s_cbranch_scc1 .LBB0_246
; %bb.242:                              ;   in Loop: Header=BB0_220 Depth=1
	v_mov_b32_e32 v17, 0
	v_mov_b32_e32 v18, 0
	s_cmp_eq_u32 s7, 0
	s_cbranch_scc1 .LBB0_245
; %bb.243:                              ;   in Loop: Header=BB0_220 Depth=1
	s_mov_b64 s[2:3], 0
	s_mov_b64 s[20:21], 0
.LBB0_244:                              ;   Parent Loop BB0_220 Depth=1
                                        ; =>  This Inner Loop Header: Depth=2
	s_delay_alu instid0(SALU_CYCLE_1)
	s_add_nc_u64 s[26:27], s[18:19], s[20:21]
	s_add_nc_u64 s[20:21], s[20:21], 1
	global_load_u8 v0, v10, s[26:27]
	s_cmp_lg_u32 s7, s20
	s_wait_loadcnt 0x0
	v_and_b32_e32 v9, 0xffff, v0
	s_wait_alu 0xfffe
	s_delay_alu instid0(VALU_DEP_1) | instskip(SKIP_1) | instid1(VALU_DEP_1)
	v_lshlrev_b64_e32 v[0:1], s2, v[9:10]
	s_add_nc_u64 s[2:3], s[2:3], 8
	v_or_b32_e32 v17, v0, v17
	s_delay_alu instid0(VALU_DEP_2)
	v_or_b32_e32 v18, v1, v18
	s_cbranch_scc1 .LBB0_244
.LBB0_245:                              ;   in Loop: Header=BB0_220 Depth=1
	s_mov_b64 s[2:3], s[18:19]
	s_mov_b32 s10, 0
	s_cbranch_execz .LBB0_247
	s_branch .LBB0_248
.LBB0_246:                              ;   in Loop: Header=BB0_220 Depth=1
	s_add_nc_u64 s[2:3], s[18:19], 8
                                        ; implicit-def: $vgpr17_vgpr18
	s_mov_b32 s10, 0
.LBB0_247:                              ;   in Loop: Header=BB0_220 Depth=1
	global_load_b64 v[17:18], v10, s[18:19]
	s_add_co_i32 s10, s7, -8
.LBB0_248:                              ;   in Loop: Header=BB0_220 Depth=1
	s_wait_alu 0xfffe
	s_cmp_gt_u32 s10, 7
	s_cbranch_scc1 .LBB0_253
; %bb.249:                              ;   in Loop: Header=BB0_220 Depth=1
	v_mov_b32_e32 v19, 0
	v_mov_b32_e32 v20, 0
	s_cmp_eq_u32 s10, 0
	s_cbranch_scc1 .LBB0_252
; %bb.250:                              ;   in Loop: Header=BB0_220 Depth=1
	s_mov_b64 s[18:19], 0
	s_mov_b64 s[20:21], 0
.LBB0_251:                              ;   Parent Loop BB0_220 Depth=1
                                        ; =>  This Inner Loop Header: Depth=2
	s_delay_alu instid0(SALU_CYCLE_1)
	s_add_nc_u64 s[26:27], s[2:3], s[20:21]
	s_add_nc_u64 s[20:21], s[20:21], 1
	global_load_u8 v0, v10, s[26:27]
	s_cmp_lg_u32 s10, s20
	s_wait_loadcnt 0x0
	v_and_b32_e32 v9, 0xffff, v0
	s_wait_alu 0xfffe
	s_delay_alu instid0(VALU_DEP_1) | instskip(SKIP_1) | instid1(VALU_DEP_1)
	v_lshlrev_b64_e32 v[0:1], s18, v[9:10]
	s_add_nc_u64 s[18:19], s[18:19], 8
	v_or_b32_e32 v19, v0, v19
	s_delay_alu instid0(VALU_DEP_2)
	v_or_b32_e32 v20, v1, v20
	s_cbranch_scc1 .LBB0_251
.LBB0_252:                              ;   in Loop: Header=BB0_220 Depth=1
	s_mov_b64 s[18:19], s[2:3]
	s_mov_b32 s7, 0
	s_cbranch_execz .LBB0_254
	s_branch .LBB0_255
.LBB0_253:                              ;   in Loop: Header=BB0_220 Depth=1
	s_add_nc_u64 s[18:19], s[2:3], 8
	s_mov_b32 s7, 0
.LBB0_254:                              ;   in Loop: Header=BB0_220 Depth=1
	global_load_b64 v[19:20], v10, s[2:3]
	s_add_co_i32 s7, s10, -8
.LBB0_255:                              ;   in Loop: Header=BB0_220 Depth=1
	s_wait_alu 0xfffe
	s_cmp_gt_u32 s7, 7
	s_cbranch_scc1 .LBB0_260
; %bb.256:                              ;   in Loop: Header=BB0_220 Depth=1
	v_mov_b32_e32 v21, 0
	v_mov_b32_e32 v22, 0
	s_cmp_eq_u32 s7, 0
	s_cbranch_scc1 .LBB0_259
; %bb.257:                              ;   in Loop: Header=BB0_220 Depth=1
	s_mov_b64 s[2:3], 0
	s_mov_b64 s[20:21], 0
.LBB0_258:                              ;   Parent Loop BB0_220 Depth=1
                                        ; =>  This Inner Loop Header: Depth=2
	s_delay_alu instid0(SALU_CYCLE_1)
	s_add_nc_u64 s[26:27], s[18:19], s[20:21]
	s_add_nc_u64 s[20:21], s[20:21], 1
	global_load_u8 v0, v10, s[26:27]
	s_cmp_lg_u32 s7, s20
	s_wait_loadcnt 0x0
	v_and_b32_e32 v9, 0xffff, v0
	s_wait_alu 0xfffe
	s_delay_alu instid0(VALU_DEP_1) | instskip(SKIP_1) | instid1(VALU_DEP_1)
	v_lshlrev_b64_e32 v[0:1], s2, v[9:10]
	s_add_nc_u64 s[2:3], s[2:3], 8
	v_or_b32_e32 v21, v0, v21
	s_delay_alu instid0(VALU_DEP_2)
	v_or_b32_e32 v22, v1, v22
	s_cbranch_scc1 .LBB0_258
.LBB0_259:                              ;   in Loop: Header=BB0_220 Depth=1
	s_mov_b64 s[2:3], s[18:19]
	s_mov_b32 s10, 0
	s_cbranch_execz .LBB0_261
	s_branch .LBB0_262
.LBB0_260:                              ;   in Loop: Header=BB0_220 Depth=1
	s_add_nc_u64 s[2:3], s[18:19], 8
                                        ; implicit-def: $vgpr21_vgpr22
	s_mov_b32 s10, 0
.LBB0_261:                              ;   in Loop: Header=BB0_220 Depth=1
	global_load_b64 v[21:22], v10, s[18:19]
	s_add_co_i32 s10, s7, -8
.LBB0_262:                              ;   in Loop: Header=BB0_220 Depth=1
	s_wait_alu 0xfffe
	s_cmp_gt_u32 s10, 7
	s_cbranch_scc1 .LBB0_267
; %bb.263:                              ;   in Loop: Header=BB0_220 Depth=1
	v_mov_b32_e32 v23, 0
	v_mov_b32_e32 v24, 0
	s_cmp_eq_u32 s10, 0
	s_cbranch_scc1 .LBB0_266
; %bb.264:                              ;   in Loop: Header=BB0_220 Depth=1
	s_mov_b64 s[18:19], 0
	s_mov_b64 s[20:21], s[2:3]
.LBB0_265:                              ;   Parent Loop BB0_220 Depth=1
                                        ; =>  This Inner Loop Header: Depth=2
	global_load_u8 v0, v10, s[20:21]
	s_add_co_i32 s10, s10, -1
	s_add_nc_u64 s[20:21], s[20:21], 1
	s_wait_alu 0xfffe
	s_cmp_lg_u32 s10, 0
	s_wait_loadcnt 0x0
	v_and_b32_e32 v9, 0xffff, v0
	s_delay_alu instid0(VALU_DEP_1) | instskip(SKIP_1) | instid1(VALU_DEP_1)
	v_lshlrev_b64_e32 v[0:1], s18, v[9:10]
	s_add_nc_u64 s[18:19], s[18:19], 8
	v_or_b32_e32 v23, v0, v23
	s_delay_alu instid0(VALU_DEP_2)
	v_or_b32_e32 v24, v1, v24
	s_cbranch_scc1 .LBB0_265
.LBB0_266:                              ;   in Loop: Header=BB0_220 Depth=1
	s_cbranch_execz .LBB0_268
	s_branch .LBB0_269
.LBB0_267:                              ;   in Loop: Header=BB0_220 Depth=1
.LBB0_268:                              ;   in Loop: Header=BB0_220 Depth=1
	global_load_b64 v[23:24], v10, s[2:3]
.LBB0_269:                              ;   in Loop: Header=BB0_220 Depth=1
	v_readfirstlane_b32 s2, v32
	v_mov_b32_e32 v0, 0
	v_mov_b32_e32 v1, 0
	s_wait_alu 0xf1ff
	s_delay_alu instid0(VALU_DEP_3)
	v_cmp_eq_u32_e64 s2, s2, v32
	s_and_saveexec_b32 s3, s2
	s_cbranch_execz .LBB0_275
; %bb.270:                              ;   in Loop: Header=BB0_220 Depth=1
	global_load_b64 v[27:28], v10, s[8:9] offset:24 scope:SCOPE_SYS
	s_wait_loadcnt 0x0
	global_inv scope:SCOPE_SYS
	s_clause 0x1
	global_load_b64 v[0:1], v10, s[8:9] offset:40
	global_load_b64 v[25:26], v10, s[8:9]
	s_mov_b32 s7, exec_lo
	s_wait_loadcnt 0x1
	v_and_b32_e32 v1, v1, v28
	v_and_b32_e32 v0, v0, v27
	s_delay_alu instid0(VALU_DEP_2) | instskip(NEXT) | instid1(VALU_DEP_2)
	v_mul_lo_u32 v1, 24, v1
	v_mul_lo_u32 v9, 0, v0
	v_mul_hi_u32 v29, 24, v0
	v_mul_lo_u32 v0, 24, v0
	s_delay_alu instid0(VALU_DEP_3) | instskip(SKIP_1) | instid1(VALU_DEP_2)
	v_add_nc_u32_e32 v1, v1, v9
	s_wait_loadcnt 0x0
	v_add_co_u32 v0, vcc_lo, v25, v0
	s_delay_alu instid0(VALU_DEP_2) | instskip(SKIP_1) | instid1(VALU_DEP_1)
	v_add_nc_u32_e32 v1, v1, v29
	s_wait_alu 0xfffd
	v_add_co_ci_u32_e64 v1, null, v26, v1, vcc_lo
	global_load_b64 v[25:26], v[0:1], off scope:SCOPE_SYS
	s_wait_loadcnt 0x0
	global_atomic_cmpswap_b64 v[0:1], v10, v[25:28], s[8:9] offset:24 th:TH_ATOMIC_RETURN scope:SCOPE_SYS
	s_wait_loadcnt 0x0
	global_inv scope:SCOPE_SYS
	v_cmpx_ne_u64_e64 v[0:1], v[27:28]
	s_cbranch_execz .LBB0_274
; %bb.271:                              ;   in Loop: Header=BB0_220 Depth=1
	s_mov_b32 s10, 0
.LBB0_272:                              ;   Parent Loop BB0_220 Depth=1
                                        ; =>  This Inner Loop Header: Depth=2
	s_sleep 1
	s_clause 0x1
	global_load_b64 v[25:26], v10, s[8:9] offset:40
	global_load_b64 v[29:30], v10, s[8:9]
	v_dual_mov_b32 v28, v1 :: v_dual_mov_b32 v27, v0
	s_wait_loadcnt 0x1
	s_delay_alu instid0(VALU_DEP_1) | instskip(NEXT) | instid1(VALU_DEP_2)
	v_and_b32_e32 v0, v25, v27
	v_and_b32_e32 v9, v26, v28
	s_wait_loadcnt 0x0
	s_delay_alu instid0(VALU_DEP_2) | instskip(NEXT) | instid1(VALU_DEP_1)
	v_mad_co_u64_u32 v[0:1], null, v0, 24, v[29:30]
	v_mad_co_u64_u32 v[25:26], null, v9, 24, v[1:2]
	s_delay_alu instid0(VALU_DEP_1)
	v_mov_b32_e32 v1, v25
	global_load_b64 v[25:26], v[0:1], off scope:SCOPE_SYS
	s_wait_loadcnt 0x0
	global_atomic_cmpswap_b64 v[0:1], v10, v[25:28], s[8:9] offset:24 th:TH_ATOMIC_RETURN scope:SCOPE_SYS
	s_wait_loadcnt 0x0
	global_inv scope:SCOPE_SYS
	v_cmp_eq_u64_e32 vcc_lo, v[0:1], v[27:28]
	s_wait_alu 0xfffe
	s_or_b32 s10, vcc_lo, s10
	s_wait_alu 0xfffe
	s_and_not1_b32 exec_lo, exec_lo, s10
	s_cbranch_execnz .LBB0_272
; %bb.273:                              ;   in Loop: Header=BB0_220 Depth=1
	s_or_b32 exec_lo, exec_lo, s10
.LBB0_274:                              ;   in Loop: Header=BB0_220 Depth=1
	s_wait_alu 0xfffe
	s_or_b32 exec_lo, exec_lo, s7
.LBB0_275:                              ;   in Loop: Header=BB0_220 Depth=1
	s_wait_alu 0xfffe
	s_or_b32 exec_lo, exec_lo, s3
	s_clause 0x1
	global_load_b64 v[29:30], v10, s[8:9] offset:40
	global_load_b128 v[25:28], v10, s[8:9]
	v_readfirstlane_b32 s19, v1
	v_readfirstlane_b32 s18, v0
	s_mov_b32 s3, exec_lo
	s_wait_loadcnt 0x1
	s_wait_alu 0xf1ff
	v_and_b32_e32 v30, s19, v30
	v_and_b32_e32 v29, s18, v29
	s_delay_alu instid0(VALU_DEP_2) | instskip(NEXT) | instid1(VALU_DEP_2)
	v_mul_lo_u32 v0, 24, v30
	v_mul_lo_u32 v1, 0, v29
	v_mul_hi_u32 v9, 24, v29
	v_mul_lo_u32 v35, 24, v29
	s_delay_alu instid0(VALU_DEP_3) | instskip(NEXT) | instid1(VALU_DEP_1)
	v_add_nc_u32_e32 v0, v0, v1
	v_add_nc_u32_e32 v1, v0, v9
	s_wait_loadcnt 0x0
	s_delay_alu instid0(VALU_DEP_3) | instskip(SKIP_1) | instid1(VALU_DEP_2)
	v_add_co_u32 v0, vcc_lo, v25, v35
	s_wait_alu 0xfffd
	v_add_co_ci_u32_e64 v1, null, v26, v1, vcc_lo
	s_and_saveexec_b32 s7, s2
	s_cbranch_execz .LBB0_277
; %bb.276:                              ;   in Loop: Header=BB0_220 Depth=1
	s_wait_alu 0xfffe
	v_mov_b32_e32 v9, s3
	global_store_b128 v[0:1], v[9:12], off offset:8
.LBB0_277:                              ;   in Loop: Header=BB0_220 Depth=1
	s_wait_alu 0xfffe
	s_or_b32 exec_lo, exec_lo, s7
	v_cmp_lt_u64_e64 vcc_lo, s[14:15], 57
	v_lshlrev_b64_e32 v[29:30], 12, v[29:30]
	v_and_b32_e32 v5, 0xffffff1f, v5
	s_lshl_b32 s3, s16, 2
	s_wait_alu 0xfffe
	s_add_co_i32 s3, s3, 28
	s_wait_alu 0xfffd
	v_cndmask_b32_e32 v9, 0, v33, vcc_lo
	v_add_co_u32 v27, vcc_lo, v27, v29
	s_wait_alu 0xfffd
	v_add_co_ci_u32_e64 v28, null, v28, v30, vcc_lo
	s_delay_alu instid0(VALU_DEP_3) | instskip(NEXT) | instid1(VALU_DEP_3)
	v_or_b32_e32 v5, v5, v9
	v_readfirstlane_b32 s20, v27
	s_delay_alu instid0(VALU_DEP_3) | instskip(SKIP_1) | instid1(VALU_DEP_3)
	v_readfirstlane_b32 s21, v28
	s_wait_alu 0xfffe
	v_and_or_b32 v5, 0x1e0, s3, v5
	s_clause 0x3
	global_store_b128 v31, v[5:8], s[20:21]
	global_store_b128 v31, v[13:16], s[20:21] offset:16
	global_store_b128 v31, v[17:20], s[20:21] offset:32
	;; [unrolled: 1-line block ×3, first 2 shown]
	s_and_saveexec_b32 s3, s2
	s_cbranch_execz .LBB0_285
; %bb.278:                              ;   in Loop: Header=BB0_220 Depth=1
	s_clause 0x1
	global_load_b64 v[17:18], v10, s[8:9] offset:32 scope:SCOPE_SYS
	global_load_b64 v[5:6], v10, s[8:9] offset:40
	s_mov_b32 s7, exec_lo
	v_dual_mov_b32 v15, s18 :: v_dual_mov_b32 v16, s19
	s_wait_loadcnt 0x0
	v_and_b32_e32 v5, s18, v5
	v_and_b32_e32 v6, s19, v6
	s_delay_alu instid0(VALU_DEP_2) | instskip(NEXT) | instid1(VALU_DEP_2)
	v_mul_lo_u32 v7, 0, v5
	v_mul_lo_u32 v6, 24, v6
	v_mul_hi_u32 v8, 24, v5
	v_mul_lo_u32 v5, 24, v5
	s_delay_alu instid0(VALU_DEP_3) | instskip(NEXT) | instid1(VALU_DEP_2)
	v_add_nc_u32_e32 v6, v6, v7
	v_add_co_u32 v13, vcc_lo, v25, v5
	s_delay_alu instid0(VALU_DEP_2) | instskip(SKIP_1) | instid1(VALU_DEP_1)
	v_add_nc_u32_e32 v6, v6, v8
	s_wait_alu 0xfffd
	v_add_co_ci_u32_e64 v14, null, v26, v6, vcc_lo
	global_store_b64 v[13:14], v[17:18], off
	global_wb scope:SCOPE_SYS
	s_wait_storecnt 0x0
	global_atomic_cmpswap_b64 v[7:8], v10, v[15:18], s[8:9] offset:32 th:TH_ATOMIC_RETURN scope:SCOPE_SYS
	s_wait_loadcnt 0x0
	v_cmpx_ne_u64_e64 v[7:8], v[17:18]
	s_cbranch_execz .LBB0_281
; %bb.279:                              ;   in Loop: Header=BB0_220 Depth=1
	s_mov_b32 s10, 0
.LBB0_280:                              ;   Parent Loop BB0_220 Depth=1
                                        ; =>  This Inner Loop Header: Depth=2
	v_dual_mov_b32 v5, s18 :: v_dual_mov_b32 v6, s19
	s_sleep 1
	global_store_b64 v[13:14], v[7:8], off
	global_wb scope:SCOPE_SYS
	s_wait_storecnt 0x0
	global_atomic_cmpswap_b64 v[5:6], v10, v[5:8], s[8:9] offset:32 th:TH_ATOMIC_RETURN scope:SCOPE_SYS
	s_wait_loadcnt 0x0
	v_cmp_eq_u64_e32 vcc_lo, v[5:6], v[7:8]
	v_dual_mov_b32 v8, v6 :: v_dual_mov_b32 v7, v5
	s_wait_alu 0xfffe
	s_or_b32 s10, vcc_lo, s10
	s_wait_alu 0xfffe
	s_and_not1_b32 exec_lo, exec_lo, s10
	s_cbranch_execnz .LBB0_280
.LBB0_281:                              ;   in Loop: Header=BB0_220 Depth=1
	s_wait_alu 0xfffe
	s_or_b32 exec_lo, exec_lo, s7
	global_load_b64 v[5:6], v10, s[8:9] offset:16
	s_mov_b32 s10, exec_lo
	s_mov_b32 s7, exec_lo
	s_wait_alu 0xfffe
	v_mbcnt_lo_u32_b32 v7, s10, 0
	s_delay_alu instid0(VALU_DEP_1)
	v_cmpx_eq_u32_e32 0, v7
	s_cbranch_execz .LBB0_283
; %bb.282:                              ;   in Loop: Header=BB0_220 Depth=1
	s_bcnt1_i32_b32 s10, s10
	s_wait_alu 0xfffe
	v_mov_b32_e32 v9, s10
	global_wb scope:SCOPE_SYS
	s_wait_loadcnt 0x0
	s_wait_storecnt 0x0
	global_atomic_add_u64 v[5:6], v[9:10], off offset:8 scope:SCOPE_SYS
.LBB0_283:                              ;   in Loop: Header=BB0_220 Depth=1
	s_or_b32 exec_lo, exec_lo, s7
	s_wait_loadcnt 0x0
	global_load_b64 v[7:8], v[5:6], off offset:16
	s_wait_loadcnt 0x0
	v_cmp_eq_u64_e32 vcc_lo, 0, v[7:8]
	s_cbranch_vccnz .LBB0_285
; %bb.284:                              ;   in Loop: Header=BB0_220 Depth=1
	global_load_b32 v9, v[5:6], off offset:24
	s_wait_loadcnt 0x0
	v_readfirstlane_b32 s7, v9
	global_wb scope:SCOPE_SYS
	s_wait_storecnt 0x0
	global_store_b64 v[7:8], v[9:10], off scope:SCOPE_SYS
	s_and_b32 m0, s7, 0xffffff
	s_sendmsg sendmsg(MSG_INTERRUPT)
.LBB0_285:                              ;   in Loop: Header=BB0_220 Depth=1
	s_wait_alu 0xfffe
	s_or_b32 exec_lo, exec_lo, s3
	v_add_co_u32 v5, vcc_lo, v27, v31
	s_wait_alu 0xfffd
	v_add_co_ci_u32_e64 v6, null, 0, v28, vcc_lo
	s_branch .LBB0_289
.LBB0_286:                              ;   in Loop: Header=BB0_289 Depth=2
	s_wait_alu 0xfffe
	s_or_b32 exec_lo, exec_lo, s3
	s_delay_alu instid0(VALU_DEP_1)
	v_readfirstlane_b32 s3, v7
	s_cmp_eq_u32 s3, 0
	s_cbranch_scc1 .LBB0_288
; %bb.287:                              ;   in Loop: Header=BB0_289 Depth=2
	s_sleep 1
	s_cbranch_execnz .LBB0_289
	s_branch .LBB0_291
.LBB0_288:                              ;   in Loop: Header=BB0_220 Depth=1
	s_branch .LBB0_291
.LBB0_289:                              ;   Parent Loop BB0_220 Depth=1
                                        ; =>  This Inner Loop Header: Depth=2
	v_mov_b32_e32 v7, 1
	s_and_saveexec_b32 s3, s2
	s_cbranch_execz .LBB0_286
; %bb.290:                              ;   in Loop: Header=BB0_289 Depth=2
	global_load_b32 v7, v[0:1], off offset:20 scope:SCOPE_SYS
	s_wait_loadcnt 0x0
	global_inv scope:SCOPE_SYS
	v_and_b32_e32 v7, 1, v7
	s_branch .LBB0_286
.LBB0_291:                              ;   in Loop: Header=BB0_220 Depth=1
	global_load_b64 v[5:6], v[5:6], off
	s_and_saveexec_b32 s7, s2
	s_cbranch_execz .LBB0_219
; %bb.292:                              ;   in Loop: Header=BB0_220 Depth=1
	s_clause 0x2
	global_load_b64 v[0:1], v10, s[8:9] offset:40
	global_load_b64 v[17:18], v10, s[8:9] offset:24 scope:SCOPE_SYS
	global_load_b64 v[7:8], v10, s[8:9]
	s_wait_loadcnt 0x2
	v_readfirstlane_b32 s20, v0
	v_readfirstlane_b32 s21, v1
	s_add_nc_u64 s[2:3], s[20:21], 1
	s_wait_alu 0xfffe
	s_add_nc_u64 s[18:19], s[2:3], s[18:19]
	s_wait_alu 0xfffe
	s_cmp_eq_u64 s[18:19], 0
	s_cselect_b32 s3, s3, s19
	s_cselect_b32 s2, s2, s18
	s_wait_alu 0xfffe
	v_dual_mov_b32 v16, s3 :: v_dual_mov_b32 v15, s2
	s_and_b64 s[18:19], s[2:3], s[20:21]
	s_wait_alu 0xfffe
	s_mul_u64 s[18:19], s[18:19], 24
	s_wait_loadcnt 0x0
	s_wait_alu 0xfffe
	v_add_co_u32 v0, vcc_lo, v7, s18
	s_wait_alu 0xfffd
	v_add_co_ci_u32_e64 v1, null, s19, v8, vcc_lo
	global_store_b64 v[0:1], v[17:18], off
	global_wb scope:SCOPE_SYS
	s_wait_storecnt 0x0
	global_atomic_cmpswap_b64 v[15:16], v10, v[15:18], s[8:9] offset:24 th:TH_ATOMIC_RETURN scope:SCOPE_SYS
	s_wait_loadcnt 0x0
	v_cmp_ne_u64_e32 vcc_lo, v[15:16], v[17:18]
	s_and_b32 exec_lo, exec_lo, vcc_lo
	s_cbranch_execz .LBB0_219
; %bb.293:                              ;   in Loop: Header=BB0_220 Depth=1
	s_mov_b32 s10, 0
.LBB0_294:                              ;   Parent Loop BB0_220 Depth=1
                                        ; =>  This Inner Loop Header: Depth=2
	v_dual_mov_b32 v13, s2 :: v_dual_mov_b32 v14, s3
	s_sleep 1
	global_store_b64 v[0:1], v[15:16], off
	global_wb scope:SCOPE_SYS
	s_wait_storecnt 0x0
	global_atomic_cmpswap_b64 v[7:8], v10, v[13:16], s[8:9] offset:24 th:TH_ATOMIC_RETURN scope:SCOPE_SYS
	s_wait_loadcnt 0x0
	v_cmp_eq_u64_e32 vcc_lo, v[7:8], v[15:16]
	v_dual_mov_b32 v16, v8 :: v_dual_mov_b32 v15, v7
	s_wait_alu 0xfffe
	s_or_b32 s10, vcc_lo, s10
	s_wait_alu 0xfffe
	s_and_not1_b32 exec_lo, exec_lo, s10
	s_cbranch_execnz .LBB0_294
	s_branch .LBB0_219
.LBB0_295:
	s_branch .LBB0_324
.LBB0_296:
                                        ; implicit-def: $vgpr5_vgpr6
	s_cbranch_execz .LBB0_324
; %bb.297:
	v_readfirstlane_b32 s2, v32
	v_mov_b32_e32 v0, 0
	v_mov_b32_e32 v1, 0
	s_wait_alu 0xf1ff
	s_delay_alu instid0(VALU_DEP_3)
	v_cmp_eq_u32_e64 s2, s2, v32
	s_and_saveexec_b32 s3, s2
	s_cbranch_execz .LBB0_303
; %bb.298:
	s_wait_loadcnt 0x0
	v_mov_b32_e32 v5, 0
	s_mov_b32 s7, exec_lo
	global_load_b64 v[8:9], v5, s[8:9] offset:24 scope:SCOPE_SYS
	s_wait_loadcnt 0x0
	global_inv scope:SCOPE_SYS
	s_clause 0x1
	global_load_b64 v[0:1], v5, s[8:9] offset:40
	global_load_b64 v[6:7], v5, s[8:9]
	s_wait_loadcnt 0x1
	v_and_b32_e32 v1, v1, v9
	v_and_b32_e32 v0, v0, v8
	s_delay_alu instid0(VALU_DEP_2) | instskip(NEXT) | instid1(VALU_DEP_2)
	v_mul_lo_u32 v1, 24, v1
	v_mul_lo_u32 v10, 0, v0
	v_mul_hi_u32 v11, 24, v0
	v_mul_lo_u32 v0, 24, v0
	s_delay_alu instid0(VALU_DEP_3) | instskip(SKIP_1) | instid1(VALU_DEP_2)
	v_add_nc_u32_e32 v1, v1, v10
	s_wait_loadcnt 0x0
	v_add_co_u32 v0, vcc_lo, v6, v0
	s_delay_alu instid0(VALU_DEP_2) | instskip(SKIP_1) | instid1(VALU_DEP_1)
	v_add_nc_u32_e32 v1, v1, v11
	s_wait_alu 0xfffd
	v_add_co_ci_u32_e64 v1, null, v7, v1, vcc_lo
	global_load_b64 v[6:7], v[0:1], off scope:SCOPE_SYS
	s_wait_loadcnt 0x0
	global_atomic_cmpswap_b64 v[0:1], v5, v[6:9], s[8:9] offset:24 th:TH_ATOMIC_RETURN scope:SCOPE_SYS
	s_wait_loadcnt 0x0
	global_inv scope:SCOPE_SYS
	v_cmpx_ne_u64_e64 v[0:1], v[8:9]
	s_cbranch_execz .LBB0_302
; %bb.299:
	s_mov_b32 s10, 0
.LBB0_300:                              ; =>This Inner Loop Header: Depth=1
	s_sleep 1
	s_clause 0x1
	global_load_b64 v[6:7], v5, s[8:9] offset:40
	global_load_b64 v[10:11], v5, s[8:9]
	v_dual_mov_b32 v9, v1 :: v_dual_mov_b32 v8, v0
	s_wait_loadcnt 0x1
	s_delay_alu instid0(VALU_DEP_1) | instskip(NEXT) | instid1(VALU_DEP_2)
	v_and_b32_e32 v0, v6, v8
	v_and_b32_e32 v6, v7, v9
	s_wait_loadcnt 0x0
	s_delay_alu instid0(VALU_DEP_2) | instskip(NEXT) | instid1(VALU_DEP_1)
	v_mad_co_u64_u32 v[0:1], null, v0, 24, v[10:11]
	v_mad_co_u64_u32 v[6:7], null, v6, 24, v[1:2]
	s_delay_alu instid0(VALU_DEP_1)
	v_mov_b32_e32 v1, v6
	global_load_b64 v[6:7], v[0:1], off scope:SCOPE_SYS
	s_wait_loadcnt 0x0
	global_atomic_cmpswap_b64 v[0:1], v5, v[6:9], s[8:9] offset:24 th:TH_ATOMIC_RETURN scope:SCOPE_SYS
	s_wait_loadcnt 0x0
	global_inv scope:SCOPE_SYS
	v_cmp_eq_u64_e32 vcc_lo, v[0:1], v[8:9]
	s_wait_alu 0xfffe
	s_or_b32 s10, vcc_lo, s10
	s_wait_alu 0xfffe
	s_and_not1_b32 exec_lo, exec_lo, s10
	s_cbranch_execnz .LBB0_300
; %bb.301:
	s_or_b32 exec_lo, exec_lo, s10
.LBB0_302:
	s_wait_alu 0xfffe
	s_or_b32 exec_lo, exec_lo, s7
.LBB0_303:
	s_wait_alu 0xfffe
	s_or_b32 exec_lo, exec_lo, s3
	v_readfirstlane_b32 s13, v1
	s_wait_loadcnt 0x0
	v_mov_b32_e32 v5, 0
	v_readfirstlane_b32 s12, v0
	s_mov_b32 s3, exec_lo
	s_clause 0x1
	global_load_b64 v[11:12], v5, s[8:9] offset:40
	global_load_b128 v[7:10], v5, s[8:9]
	s_wait_loadcnt 0x1
	s_wait_alu 0xf1ff
	v_and_b32_e32 v12, s13, v12
	v_and_b32_e32 v11, s12, v11
	s_delay_alu instid0(VALU_DEP_2) | instskip(NEXT) | instid1(VALU_DEP_2)
	v_mul_lo_u32 v0, 24, v12
	v_mul_lo_u32 v1, 0, v11
	v_mul_hi_u32 v6, 24, v11
	v_mul_lo_u32 v13, 24, v11
	s_delay_alu instid0(VALU_DEP_3) | instskip(NEXT) | instid1(VALU_DEP_1)
	v_add_nc_u32_e32 v0, v0, v1
	v_add_nc_u32_e32 v1, v0, v6
	s_wait_loadcnt 0x0
	s_delay_alu instid0(VALU_DEP_3) | instskip(SKIP_1) | instid1(VALU_DEP_2)
	v_add_co_u32 v0, vcc_lo, v7, v13
	s_wait_alu 0xfffd
	v_add_co_ci_u32_e64 v1, null, v8, v1, vcc_lo
	s_and_saveexec_b32 s7, s2
	s_cbranch_execz .LBB0_305
; %bb.304:
	s_wait_alu 0xfffe
	v_dual_mov_b32 v13, s3 :: v_dual_mov_b32 v14, v5
	v_dual_mov_b32 v15, 2 :: v_dual_mov_b32 v16, 1
	global_store_b128 v[0:1], v[13:16], off offset:8
.LBB0_305:
	s_wait_alu 0xfffe
	s_or_b32 exec_lo, exec_lo, s7
	v_lshlrev_b64_e32 v[11:12], 12, v[11:12]
	s_mov_b32 s16, 0
	v_and_or_b32 v3, 0xffffff1f, v3, 32
	s_wait_alu 0xfffe
	s_mov_b32 s17, s16
	s_mov_b32 s18, s16
	;; [unrolled: 1-line block ×3, first 2 shown]
	v_add_co_u32 v9, vcc_lo, v9, v11
	s_wait_alu 0xfffd
	v_add_co_ci_u32_e64 v10, null, v10, v12, vcc_lo
	v_dual_mov_b32 v6, v5 :: v_dual_mov_b32 v11, s16
	s_delay_alu instid0(VALU_DEP_3) | instskip(SKIP_1) | instid1(VALU_DEP_4)
	v_readfirstlane_b32 s14, v9
	v_add_co_u32 v9, vcc_lo, v9, v31
	v_readfirstlane_b32 s15, v10
	s_wait_alu 0xfffd
	v_add_co_ci_u32_e64 v10, null, 0, v10, vcc_lo
	s_wait_alu 0xfffe
	v_dual_mov_b32 v12, s17 :: v_dual_mov_b32 v13, s18
	v_mov_b32_e32 v14, s19
	s_clause 0x3
	global_store_b128 v31, v[3:6], s[14:15]
	global_store_b128 v31, v[11:14], s[14:15] offset:16
	global_store_b128 v31, v[11:14], s[14:15] offset:32
	;; [unrolled: 1-line block ×3, first 2 shown]
	s_and_saveexec_b32 s3, s2
	s_cbranch_execz .LBB0_313
; %bb.306:
	v_mov_b32_e32 v11, 0
	s_mov_b32 s7, exec_lo
	s_clause 0x1
	global_load_b64 v[14:15], v11, s[8:9] offset:32 scope:SCOPE_SYS
	global_load_b64 v[3:4], v11, s[8:9] offset:40
	v_dual_mov_b32 v12, s12 :: v_dual_mov_b32 v13, s13
	s_wait_loadcnt 0x0
	v_and_b32_e32 v4, s13, v4
	v_and_b32_e32 v3, s12, v3
	s_delay_alu instid0(VALU_DEP_2) | instskip(NEXT) | instid1(VALU_DEP_2)
	v_mul_lo_u32 v4, 24, v4
	v_mul_lo_u32 v5, 0, v3
	v_mul_hi_u32 v6, 24, v3
	v_mul_lo_u32 v3, 24, v3
	s_delay_alu instid0(VALU_DEP_3) | instskip(NEXT) | instid1(VALU_DEP_2)
	v_add_nc_u32_e32 v4, v4, v5
	v_add_co_u32 v7, vcc_lo, v7, v3
	s_delay_alu instid0(VALU_DEP_2) | instskip(SKIP_1) | instid1(VALU_DEP_1)
	v_add_nc_u32_e32 v4, v4, v6
	s_wait_alu 0xfffd
	v_add_co_ci_u32_e64 v8, null, v8, v4, vcc_lo
	global_store_b64 v[7:8], v[14:15], off
	global_wb scope:SCOPE_SYS
	s_wait_storecnt 0x0
	global_atomic_cmpswap_b64 v[5:6], v11, v[12:15], s[8:9] offset:32 th:TH_ATOMIC_RETURN scope:SCOPE_SYS
	s_wait_loadcnt 0x0
	v_cmpx_ne_u64_e64 v[5:6], v[14:15]
	s_cbranch_execz .LBB0_309
; %bb.307:
	s_mov_b32 s10, 0
.LBB0_308:                              ; =>This Inner Loop Header: Depth=1
	v_dual_mov_b32 v3, s12 :: v_dual_mov_b32 v4, s13
	s_sleep 1
	global_store_b64 v[7:8], v[5:6], off
	global_wb scope:SCOPE_SYS
	s_wait_storecnt 0x0
	global_atomic_cmpswap_b64 v[3:4], v11, v[3:6], s[8:9] offset:32 th:TH_ATOMIC_RETURN scope:SCOPE_SYS
	s_wait_loadcnt 0x0
	v_cmp_eq_u64_e32 vcc_lo, v[3:4], v[5:6]
	v_dual_mov_b32 v6, v4 :: v_dual_mov_b32 v5, v3
	s_wait_alu 0xfffe
	s_or_b32 s10, vcc_lo, s10
	s_wait_alu 0xfffe
	s_and_not1_b32 exec_lo, exec_lo, s10
	s_cbranch_execnz .LBB0_308
.LBB0_309:
	s_wait_alu 0xfffe
	s_or_b32 exec_lo, exec_lo, s7
	v_mov_b32_e32 v6, 0
	s_mov_b32 s10, exec_lo
	s_mov_b32 s7, exec_lo
	s_wait_alu 0xfffe
	v_mbcnt_lo_u32_b32 v5, s10, 0
	global_load_b64 v[3:4], v6, s[8:9] offset:16
	v_cmpx_eq_u32_e32 0, v5
	s_cbranch_execz .LBB0_311
; %bb.310:
	s_bcnt1_i32_b32 s10, s10
	s_wait_alu 0xfffe
	v_mov_b32_e32 v5, s10
	global_wb scope:SCOPE_SYS
	s_wait_loadcnt 0x0
	s_wait_storecnt 0x0
	global_atomic_add_u64 v[3:4], v[5:6], off offset:8 scope:SCOPE_SYS
.LBB0_311:
	s_or_b32 exec_lo, exec_lo, s7
	s_wait_loadcnt 0x0
	global_load_b64 v[5:6], v[3:4], off offset:16
	s_wait_loadcnt 0x0
	v_cmp_eq_u64_e32 vcc_lo, 0, v[5:6]
	s_cbranch_vccnz .LBB0_313
; %bb.312:
	global_load_b32 v3, v[3:4], off offset:24
	v_mov_b32_e32 v4, 0
	s_wait_loadcnt 0x0
	v_readfirstlane_b32 s7, v3
	global_wb scope:SCOPE_SYS
	s_wait_storecnt 0x0
	global_store_b64 v[5:6], v[3:4], off scope:SCOPE_SYS
	s_and_b32 m0, s7, 0xffffff
	s_sendmsg sendmsg(MSG_INTERRUPT)
.LBB0_313:
	s_wait_alu 0xfffe
	s_or_b32 exec_lo, exec_lo, s3
	s_branch .LBB0_317
.LBB0_314:                              ;   in Loop: Header=BB0_317 Depth=1
	s_wait_alu 0xfffe
	s_or_b32 exec_lo, exec_lo, s3
	s_delay_alu instid0(VALU_DEP_1)
	v_readfirstlane_b32 s3, v3
	s_cmp_eq_u32 s3, 0
	s_cbranch_scc1 .LBB0_316
; %bb.315:                              ;   in Loop: Header=BB0_317 Depth=1
	s_sleep 1
	s_cbranch_execnz .LBB0_317
	s_branch .LBB0_319
.LBB0_316:
	s_branch .LBB0_319
.LBB0_317:                              ; =>This Inner Loop Header: Depth=1
	v_mov_b32_e32 v3, 1
	s_and_saveexec_b32 s3, s2
	s_cbranch_execz .LBB0_314
; %bb.318:                              ;   in Loop: Header=BB0_317 Depth=1
	global_load_b32 v3, v[0:1], off offset:20 scope:SCOPE_SYS
	s_wait_loadcnt 0x0
	global_inv scope:SCOPE_SYS
	v_and_b32_e32 v3, 1, v3
	s_branch .LBB0_314
.LBB0_319:
	global_load_b64 v[5:6], v[9:10], off
	s_and_saveexec_b32 s7, s2
	s_cbranch_execz .LBB0_323
; %bb.320:
	v_mov_b32_e32 v3, 0
	s_clause 0x2
	global_load_b64 v[0:1], v3, s[8:9] offset:40
	global_load_b64 v[11:12], v3, s[8:9] offset:24 scope:SCOPE_SYS
	global_load_b64 v[7:8], v3, s[8:9]
	s_wait_loadcnt 0x2
	v_readfirstlane_b32 s14, v0
	v_readfirstlane_b32 s15, v1
	s_add_nc_u64 s[2:3], s[14:15], 1
	s_wait_alu 0xfffe
	s_add_nc_u64 s[12:13], s[2:3], s[12:13]
	s_wait_alu 0xfffe
	s_cmp_eq_u64 s[12:13], 0
	s_cselect_b32 s3, s3, s13
	s_cselect_b32 s2, s2, s12
	s_wait_alu 0xfffe
	v_mov_b32_e32 v10, s3
	s_and_b64 s[12:13], s[2:3], s[14:15]
	v_mov_b32_e32 v9, s2
	s_wait_alu 0xfffe
	s_mul_u64 s[12:13], s[12:13], 24
	s_wait_loadcnt 0x0
	s_wait_alu 0xfffe
	v_add_co_u32 v0, vcc_lo, v7, s12
	s_wait_alu 0xfffd
	v_add_co_ci_u32_e64 v1, null, s13, v8, vcc_lo
	global_store_b64 v[0:1], v[11:12], off
	global_wb scope:SCOPE_SYS
	s_wait_storecnt 0x0
	global_atomic_cmpswap_b64 v[9:10], v3, v[9:12], s[8:9] offset:24 th:TH_ATOMIC_RETURN scope:SCOPE_SYS
	s_wait_loadcnt 0x0
	v_cmp_ne_u64_e32 vcc_lo, v[9:10], v[11:12]
	s_and_b32 exec_lo, exec_lo, vcc_lo
	s_cbranch_execz .LBB0_323
; %bb.321:
	s_mov_b32 s10, 0
.LBB0_322:                              ; =>This Inner Loop Header: Depth=1
	v_dual_mov_b32 v7, s2 :: v_dual_mov_b32 v8, s3
	s_sleep 1
	global_store_b64 v[0:1], v[9:10], off
	global_wb scope:SCOPE_SYS
	s_wait_storecnt 0x0
	global_atomic_cmpswap_b64 v[7:8], v3, v[7:10], s[8:9] offset:24 th:TH_ATOMIC_RETURN scope:SCOPE_SYS
	s_wait_loadcnt 0x0
	v_cmp_eq_u64_e32 vcc_lo, v[7:8], v[9:10]
	v_dual_mov_b32 v10, v8 :: v_dual_mov_b32 v9, v7
	s_wait_alu 0xfffe
	s_or_b32 s10, vcc_lo, s10
	s_wait_alu 0xfffe
	s_and_not1_b32 exec_lo, exec_lo, s10
	s_cbranch_execnz .LBB0_322
.LBB0_323:
	s_wait_alu 0xfffe
	s_or_b32 exec_lo, exec_lo, s7
.LBB0_324:
	v_readfirstlane_b32 s2, v32
	v_mov_b32_e32 v0, 0
	v_mov_b32_e32 v1, 0
	s_wait_alu 0xf1ff
	s_delay_alu instid0(VALU_DEP_3)
	v_cmp_eq_u32_e64 s2, s2, v32
	s_and_saveexec_b32 s3, s2
	s_cbranch_execz .LBB0_330
; %bb.325:
	s_wait_loadcnt 0x0
	v_mov_b32_e32 v3, 0
	s_mov_b32 s7, exec_lo
	global_load_b64 v[9:10], v3, s[8:9] offset:24 scope:SCOPE_SYS
	s_wait_loadcnt 0x0
	global_inv scope:SCOPE_SYS
	s_clause 0x1
	global_load_b64 v[0:1], v3, s[8:9] offset:40
	global_load_b64 v[7:8], v3, s[8:9]
	s_wait_loadcnt 0x1
	v_and_b32_e32 v1, v1, v10
	v_and_b32_e32 v0, v0, v9
	s_delay_alu instid0(VALU_DEP_2) | instskip(NEXT) | instid1(VALU_DEP_2)
	v_mul_lo_u32 v1, 24, v1
	v_mul_lo_u32 v4, 0, v0
	v_mul_hi_u32 v11, 24, v0
	v_mul_lo_u32 v0, 24, v0
	s_delay_alu instid0(VALU_DEP_3) | instskip(SKIP_1) | instid1(VALU_DEP_2)
	v_add_nc_u32_e32 v1, v1, v4
	s_wait_loadcnt 0x0
	v_add_co_u32 v0, vcc_lo, v7, v0
	s_delay_alu instid0(VALU_DEP_2) | instskip(SKIP_1) | instid1(VALU_DEP_1)
	v_add_nc_u32_e32 v1, v1, v11
	s_wait_alu 0xfffd
	v_add_co_ci_u32_e64 v1, null, v8, v1, vcc_lo
	global_load_b64 v[7:8], v[0:1], off scope:SCOPE_SYS
	s_wait_loadcnt 0x0
	global_atomic_cmpswap_b64 v[0:1], v3, v[7:10], s[8:9] offset:24 th:TH_ATOMIC_RETURN scope:SCOPE_SYS
	s_wait_loadcnt 0x0
	global_inv scope:SCOPE_SYS
	v_cmpx_ne_u64_e64 v[0:1], v[9:10]
	s_cbranch_execz .LBB0_329
; %bb.326:
	s_mov_b32 s10, 0
.LBB0_327:                              ; =>This Inner Loop Header: Depth=1
	s_sleep 1
	s_clause 0x1
	global_load_b64 v[7:8], v3, s[8:9] offset:40
	global_load_b64 v[11:12], v3, s[8:9]
	v_dual_mov_b32 v10, v1 :: v_dual_mov_b32 v9, v0
	s_wait_loadcnt 0x1
	s_delay_alu instid0(VALU_DEP_1) | instskip(NEXT) | instid1(VALU_DEP_2)
	v_and_b32_e32 v0, v7, v9
	v_and_b32_e32 v4, v8, v10
	s_wait_loadcnt 0x0
	s_delay_alu instid0(VALU_DEP_2) | instskip(NEXT) | instid1(VALU_DEP_1)
	v_mad_co_u64_u32 v[0:1], null, v0, 24, v[11:12]
	v_mad_co_u64_u32 v[7:8], null, v4, 24, v[1:2]
	s_delay_alu instid0(VALU_DEP_1)
	v_mov_b32_e32 v1, v7
	global_load_b64 v[7:8], v[0:1], off scope:SCOPE_SYS
	s_wait_loadcnt 0x0
	global_atomic_cmpswap_b64 v[0:1], v3, v[7:10], s[8:9] offset:24 th:TH_ATOMIC_RETURN scope:SCOPE_SYS
	s_wait_loadcnt 0x0
	global_inv scope:SCOPE_SYS
	v_cmp_eq_u64_e32 vcc_lo, v[0:1], v[9:10]
	s_wait_alu 0xfffe
	s_or_b32 s10, vcc_lo, s10
	s_wait_alu 0xfffe
	s_and_not1_b32 exec_lo, exec_lo, s10
	s_cbranch_execnz .LBB0_327
; %bb.328:
	s_or_b32 exec_lo, exec_lo, s10
.LBB0_329:
	s_wait_alu 0xfffe
	s_or_b32 exec_lo, exec_lo, s7
.LBB0_330:
	s_wait_alu 0xfffe
	s_or_b32 exec_lo, exec_lo, s3
	v_readfirstlane_b32 s12, v0
	v_mov_b32_e32 v8, 0
	v_readfirstlane_b32 s13, v1
	s_mov_b32 s3, exec_lo
	s_wait_loadcnt 0x0
	s_clause 0x1
	global_load_b64 v[3:4], v8, s[8:9] offset:40
	global_load_b128 v[9:12], v8, s[8:9]
	s_wait_loadcnt 0x1
	s_wait_alu 0xf1ff
	v_and_b32_e32 v4, s13, v4
	v_and_b32_e32 v3, s12, v3
	s_delay_alu instid0(VALU_DEP_2) | instskip(NEXT) | instid1(VALU_DEP_2)
	v_mul_lo_u32 v0, 24, v4
	v_mul_lo_u32 v1, 0, v3
	v_mul_hi_u32 v7, 24, v3
	v_mul_lo_u32 v13, 24, v3
	s_delay_alu instid0(VALU_DEP_3) | instskip(NEXT) | instid1(VALU_DEP_1)
	v_add_nc_u32_e32 v0, v0, v1
	v_add_nc_u32_e32 v1, v0, v7
	s_wait_loadcnt 0x0
	s_delay_alu instid0(VALU_DEP_3) | instskip(SKIP_1) | instid1(VALU_DEP_2)
	v_add_co_u32 v0, vcc_lo, v9, v13
	s_wait_alu 0xfffd
	v_add_co_ci_u32_e64 v1, null, v10, v1, vcc_lo
	s_and_saveexec_b32 s7, s2
	s_cbranch_execz .LBB0_332
; %bb.331:
	s_wait_alu 0xfffe
	v_dual_mov_b32 v7, s3 :: v_dual_mov_b32 v16, 1
	v_dual_mov_b32 v15, 2 :: v_dual_mov_b32 v14, v8
	s_delay_alu instid0(VALU_DEP_2)
	v_mov_b32_e32 v13, v7
	global_store_b128 v[0:1], v[13:16], off offset:8
.LBB0_332:
	s_wait_alu 0xfffe
	s_or_b32 exec_lo, exec_lo, s7
	s_mul_i32 s3, s11, s22
	v_lshlrev_b64_e32 v[3:4], 12, v[3:4]
	s_wait_alu 0xfffe
	s_sub_co_i32 s3, s6, s3
	s_add_co_i32 s7, s11, 1
	s_wait_alu 0xfffe
	s_sub_co_i32 s10, s3, s22
	s_cmp_ge_u32 s3, s22
	s_mov_b32 s16, 0
	s_cselect_b32 s7, s7, s11
	v_add_co_u32 v3, vcc_lo, v11, v3
	s_wait_alu 0xfffe
	s_cselect_b32 s3, s10, s3
	s_add_co_i32 s10, s7, 1
	s_wait_alu 0xfffd
	v_add_co_ci_u32_e64 v4, null, v12, v4, vcc_lo
	s_wait_alu 0xfffe
	s_cmp_ge_u32 s3, s22
	v_add_co_u32 v11, vcc_lo, v3, v31
	s_cselect_b32 s3, s10, s7
	s_mov_b32 s17, s16
	s_mov_b32 s18, s16
	;; [unrolled: 1-line block ×3, first 2 shown]
	v_and_or_b32 v5, 0xffffff1f, v5, 32
	s_wait_alu 0xfffe
	v_mov_b32_e32 v7, s3
	v_readfirstlane_b32 s10, v3
	v_readfirstlane_b32 s11, v4
	v_dual_mov_b32 v13, s16 :: v_dual_mov_b32 v16, s19
	s_wait_alu 0xfffd
	v_add_co_ci_u32_e64 v12, null, 0, v4, vcc_lo
	v_dual_mov_b32 v14, s17 :: v_dual_mov_b32 v15, s18
	s_clause 0x3
	global_store_b128 v31, v[5:8], s[10:11]
	global_store_b128 v31, v[13:16], s[10:11] offset:16
	global_store_b128 v31, v[13:16], s[10:11] offset:32
	;; [unrolled: 1-line block ×3, first 2 shown]
	s_and_saveexec_b32 s3, s2
	s_cbranch_execz .LBB0_340
; %bb.333:
	v_mov_b32_e32 v13, 0
	s_mov_b32 s7, exec_lo
	s_clause 0x1
	global_load_b64 v[16:17], v13, s[8:9] offset:32 scope:SCOPE_SYS
	global_load_b64 v[3:4], v13, s[8:9] offset:40
	v_dual_mov_b32 v14, s12 :: v_dual_mov_b32 v15, s13
	s_wait_loadcnt 0x0
	v_and_b32_e32 v4, s13, v4
	v_and_b32_e32 v3, s12, v3
	s_delay_alu instid0(VALU_DEP_2) | instskip(NEXT) | instid1(VALU_DEP_2)
	v_mul_lo_u32 v4, 24, v4
	v_mul_lo_u32 v5, 0, v3
	v_mul_hi_u32 v6, 24, v3
	v_mul_lo_u32 v3, 24, v3
	s_delay_alu instid0(VALU_DEP_3) | instskip(NEXT) | instid1(VALU_DEP_2)
	v_add_nc_u32_e32 v4, v4, v5
	v_add_co_u32 v7, vcc_lo, v9, v3
	s_delay_alu instid0(VALU_DEP_2) | instskip(SKIP_1) | instid1(VALU_DEP_1)
	v_add_nc_u32_e32 v4, v4, v6
	s_wait_alu 0xfffd
	v_add_co_ci_u32_e64 v8, null, v10, v4, vcc_lo
	global_store_b64 v[7:8], v[16:17], off
	global_wb scope:SCOPE_SYS
	s_wait_storecnt 0x0
	global_atomic_cmpswap_b64 v[5:6], v13, v[14:17], s[8:9] offset:32 th:TH_ATOMIC_RETURN scope:SCOPE_SYS
	s_wait_loadcnt 0x0
	v_cmpx_ne_u64_e64 v[5:6], v[16:17]
	s_cbranch_execz .LBB0_336
; %bb.334:
	s_mov_b32 s10, 0
.LBB0_335:                              ; =>This Inner Loop Header: Depth=1
	v_dual_mov_b32 v3, s12 :: v_dual_mov_b32 v4, s13
	s_sleep 1
	global_store_b64 v[7:8], v[5:6], off
	global_wb scope:SCOPE_SYS
	s_wait_storecnt 0x0
	global_atomic_cmpswap_b64 v[3:4], v13, v[3:6], s[8:9] offset:32 th:TH_ATOMIC_RETURN scope:SCOPE_SYS
	s_wait_loadcnt 0x0
	v_cmp_eq_u64_e32 vcc_lo, v[3:4], v[5:6]
	v_dual_mov_b32 v6, v4 :: v_dual_mov_b32 v5, v3
	s_wait_alu 0xfffe
	s_or_b32 s10, vcc_lo, s10
	s_wait_alu 0xfffe
	s_and_not1_b32 exec_lo, exec_lo, s10
	s_cbranch_execnz .LBB0_335
.LBB0_336:
	s_wait_alu 0xfffe
	s_or_b32 exec_lo, exec_lo, s7
	v_mov_b32_e32 v6, 0
	s_mov_b32 s10, exec_lo
	s_mov_b32 s7, exec_lo
	s_wait_alu 0xfffe
	v_mbcnt_lo_u32_b32 v5, s10, 0
	global_load_b64 v[3:4], v6, s[8:9] offset:16
	v_cmpx_eq_u32_e32 0, v5
	s_cbranch_execz .LBB0_338
; %bb.337:
	s_bcnt1_i32_b32 s10, s10
	s_wait_alu 0xfffe
	v_mov_b32_e32 v5, s10
	global_wb scope:SCOPE_SYS
	s_wait_loadcnt 0x0
	s_wait_storecnt 0x0
	global_atomic_add_u64 v[3:4], v[5:6], off offset:8 scope:SCOPE_SYS
.LBB0_338:
	s_or_b32 exec_lo, exec_lo, s7
	s_wait_loadcnt 0x0
	global_load_b64 v[5:6], v[3:4], off offset:16
	s_wait_loadcnt 0x0
	v_cmp_eq_u64_e32 vcc_lo, 0, v[5:6]
	s_cbranch_vccnz .LBB0_340
; %bb.339:
	global_load_b32 v3, v[3:4], off offset:24
	v_mov_b32_e32 v4, 0
	s_wait_loadcnt 0x0
	v_readfirstlane_b32 s7, v3
	global_wb scope:SCOPE_SYS
	s_wait_storecnt 0x0
	global_store_b64 v[5:6], v[3:4], off scope:SCOPE_SYS
	s_and_b32 m0, s7, 0xffffff
	s_sendmsg sendmsg(MSG_INTERRUPT)
.LBB0_340:
	s_wait_alu 0xfffe
	s_or_b32 exec_lo, exec_lo, s3
	s_branch .LBB0_344
.LBB0_341:                              ;   in Loop: Header=BB0_344 Depth=1
	s_wait_alu 0xfffe
	s_or_b32 exec_lo, exec_lo, s3
	s_delay_alu instid0(VALU_DEP_1)
	v_readfirstlane_b32 s3, v3
	s_cmp_eq_u32 s3, 0
	s_cbranch_scc1 .LBB0_343
; %bb.342:                              ;   in Loop: Header=BB0_344 Depth=1
	s_sleep 1
	s_cbranch_execnz .LBB0_344
	s_branch .LBB0_346
.LBB0_343:
	s_branch .LBB0_346
.LBB0_344:                              ; =>This Inner Loop Header: Depth=1
	v_mov_b32_e32 v3, 1
	s_and_saveexec_b32 s3, s2
	s_cbranch_execz .LBB0_341
; %bb.345:                              ;   in Loop: Header=BB0_344 Depth=1
	global_load_b32 v3, v[0:1], off offset:20 scope:SCOPE_SYS
	s_wait_loadcnt 0x0
	global_inv scope:SCOPE_SYS
	v_and_b32_e32 v3, 1, v3
	s_branch .LBB0_341
.LBB0_346:
	global_load_b64 v[3:4], v[11:12], off
	s_and_saveexec_b32 s7, s2
	s_cbranch_execz .LBB0_350
; %bb.347:
	v_mov_b32_e32 v9, 0
	s_clause 0x2
	global_load_b64 v[0:1], v9, s[8:9] offset:40
	global_load_b64 v[12:13], v9, s[8:9] offset:24 scope:SCOPE_SYS
	global_load_b64 v[5:6], v9, s[8:9]
	s_wait_loadcnt 0x2
	v_readfirstlane_b32 s10, v0
	v_readfirstlane_b32 s11, v1
	s_add_nc_u64 s[2:3], s[10:11], 1
	s_wait_alu 0xfffe
	s_add_nc_u64 s[12:13], s[2:3], s[12:13]
	s_wait_alu 0xfffe
	s_cmp_eq_u64 s[12:13], 0
	s_cselect_b32 s3, s3, s13
	s_cselect_b32 s2, s2, s12
	s_wait_alu 0xfffe
	v_mov_b32_e32 v11, s3
	s_and_b64 s[10:11], s[2:3], s[10:11]
	v_mov_b32_e32 v10, s2
	s_wait_alu 0xfffe
	s_mul_u64 s[10:11], s[10:11], 24
	s_wait_loadcnt 0x0
	s_wait_alu 0xfffe
	v_add_co_u32 v0, vcc_lo, v5, s10
	s_wait_alu 0xfffd
	v_add_co_ci_u32_e64 v1, null, s11, v6, vcc_lo
	global_store_b64 v[0:1], v[12:13], off
	global_wb scope:SCOPE_SYS
	s_wait_storecnt 0x0
	global_atomic_cmpswap_b64 v[7:8], v9, v[10:13], s[8:9] offset:24 th:TH_ATOMIC_RETURN scope:SCOPE_SYS
	s_wait_loadcnt 0x0
	v_cmp_ne_u64_e32 vcc_lo, v[7:8], v[12:13]
	s_and_b32 exec_lo, exec_lo, vcc_lo
	s_cbranch_execz .LBB0_350
; %bb.348:
	s_mov_b32 s10, 0
.LBB0_349:                              ; =>This Inner Loop Header: Depth=1
	v_dual_mov_b32 v5, s2 :: v_dual_mov_b32 v6, s3
	s_sleep 1
	global_store_b64 v[0:1], v[7:8], off
	global_wb scope:SCOPE_SYS
	s_wait_storecnt 0x0
	global_atomic_cmpswap_b64 v[5:6], v9, v[5:8], s[8:9] offset:24 th:TH_ATOMIC_RETURN scope:SCOPE_SYS
	s_wait_loadcnt 0x0
	v_cmp_eq_u64_e32 vcc_lo, v[5:6], v[7:8]
	v_dual_mov_b32 v8, v6 :: v_dual_mov_b32 v7, v5
	s_wait_alu 0xfffe
	s_or_b32 s10, vcc_lo, s10
	s_wait_alu 0xfffe
	s_and_not1_b32 exec_lo, exec_lo, s10
	s_cbranch_execnz .LBB0_349
.LBB0_350:
	s_wait_alu 0xfffe
	s_or_b32 exec_lo, exec_lo, s7
	v_readfirstlane_b32 s2, v32
	v_mov_b32_e32 v0, 0
	v_mov_b32_e32 v1, 0
	s_wait_alu 0xf1ff
	s_delay_alu instid0(VALU_DEP_3)
	v_cmp_eq_u32_e64 s2, s2, v32
	s_and_saveexec_b32 s3, s2
	s_cbranch_execz .LBB0_356
; %bb.351:
	v_mov_b32_e32 v5, 0
	s_mov_b32 s7, exec_lo
	global_load_b64 v[8:9], v5, s[8:9] offset:24 scope:SCOPE_SYS
	s_wait_loadcnt 0x0
	global_inv scope:SCOPE_SYS
	s_clause 0x1
	global_load_b64 v[0:1], v5, s[8:9] offset:40
	global_load_b64 v[6:7], v5, s[8:9]
	s_wait_loadcnt 0x1
	v_and_b32_e32 v1, v1, v9
	v_and_b32_e32 v0, v0, v8
	s_delay_alu instid0(VALU_DEP_2) | instskip(NEXT) | instid1(VALU_DEP_2)
	v_mul_lo_u32 v1, 24, v1
	v_mul_lo_u32 v10, 0, v0
	v_mul_hi_u32 v11, 24, v0
	v_mul_lo_u32 v0, 24, v0
	s_delay_alu instid0(VALU_DEP_3) | instskip(SKIP_1) | instid1(VALU_DEP_2)
	v_add_nc_u32_e32 v1, v1, v10
	s_wait_loadcnt 0x0
	v_add_co_u32 v0, vcc_lo, v6, v0
	s_delay_alu instid0(VALU_DEP_2) | instskip(SKIP_1) | instid1(VALU_DEP_1)
	v_add_nc_u32_e32 v1, v1, v11
	s_wait_alu 0xfffd
	v_add_co_ci_u32_e64 v1, null, v7, v1, vcc_lo
	global_load_b64 v[6:7], v[0:1], off scope:SCOPE_SYS
	s_wait_loadcnt 0x0
	global_atomic_cmpswap_b64 v[0:1], v5, v[6:9], s[8:9] offset:24 th:TH_ATOMIC_RETURN scope:SCOPE_SYS
	s_wait_loadcnt 0x0
	global_inv scope:SCOPE_SYS
	v_cmpx_ne_u64_e64 v[0:1], v[8:9]
	s_cbranch_execz .LBB0_355
; %bb.352:
	s_mov_b32 s10, 0
.LBB0_353:                              ; =>This Inner Loop Header: Depth=1
	s_sleep 1
	s_clause 0x1
	global_load_b64 v[6:7], v5, s[8:9] offset:40
	global_load_b64 v[10:11], v5, s[8:9]
	v_dual_mov_b32 v9, v1 :: v_dual_mov_b32 v8, v0
	s_wait_loadcnt 0x1
	s_delay_alu instid0(VALU_DEP_1) | instskip(NEXT) | instid1(VALU_DEP_2)
	v_and_b32_e32 v0, v6, v8
	v_and_b32_e32 v6, v7, v9
	s_wait_loadcnt 0x0
	s_delay_alu instid0(VALU_DEP_2) | instskip(NEXT) | instid1(VALU_DEP_1)
	v_mad_co_u64_u32 v[0:1], null, v0, 24, v[10:11]
	v_mad_co_u64_u32 v[6:7], null, v6, 24, v[1:2]
	s_delay_alu instid0(VALU_DEP_1)
	v_mov_b32_e32 v1, v6
	global_load_b64 v[6:7], v[0:1], off scope:SCOPE_SYS
	s_wait_loadcnt 0x0
	global_atomic_cmpswap_b64 v[0:1], v5, v[6:9], s[8:9] offset:24 th:TH_ATOMIC_RETURN scope:SCOPE_SYS
	s_wait_loadcnt 0x0
	global_inv scope:SCOPE_SYS
	v_cmp_eq_u64_e32 vcc_lo, v[0:1], v[8:9]
	s_wait_alu 0xfffe
	s_or_b32 s10, vcc_lo, s10
	s_wait_alu 0xfffe
	s_and_not1_b32 exec_lo, exec_lo, s10
	s_cbranch_execnz .LBB0_353
; %bb.354:
	s_or_b32 exec_lo, exec_lo, s10
.LBB0_355:
	s_wait_alu 0xfffe
	s_or_b32 exec_lo, exec_lo, s7
.LBB0_356:
	s_wait_alu 0xfffe
	s_or_b32 exec_lo, exec_lo, s3
	v_readfirstlane_b32 s10, v0
	v_mov_b32_e32 v6, 0
	v_readfirstlane_b32 s11, v1
	s_mov_b32 s3, exec_lo
	s_clause 0x1
	global_load_b64 v[11:12], v6, s[8:9] offset:40
	global_load_b128 v[7:10], v6, s[8:9]
	s_wait_loadcnt 0x1
	s_wait_alu 0xf1ff
	v_and_b32_e32 v12, s11, v12
	v_and_b32_e32 v11, s10, v11
	s_delay_alu instid0(VALU_DEP_2) | instskip(NEXT) | instid1(VALU_DEP_2)
	v_mul_lo_u32 v0, 24, v12
	v_mul_lo_u32 v1, 0, v11
	v_mul_hi_u32 v5, 24, v11
	v_mul_lo_u32 v13, 24, v11
	s_delay_alu instid0(VALU_DEP_3) | instskip(NEXT) | instid1(VALU_DEP_1)
	v_add_nc_u32_e32 v0, v0, v1
	v_add_nc_u32_e32 v1, v0, v5
	s_wait_loadcnt 0x0
	s_delay_alu instid0(VALU_DEP_3) | instskip(SKIP_1) | instid1(VALU_DEP_2)
	v_add_co_u32 v0, vcc_lo, v7, v13
	s_wait_alu 0xfffd
	v_add_co_ci_u32_e64 v1, null, v8, v1, vcc_lo
	s_and_saveexec_b32 s7, s2
	s_cbranch_execz .LBB0_358
; %bb.357:
	s_wait_alu 0xfffe
	v_dual_mov_b32 v5, s3 :: v_dual_mov_b32 v16, 1
	v_dual_mov_b32 v15, 2 :: v_dual_mov_b32 v14, v6
	s_delay_alu instid0(VALU_DEP_2)
	v_mov_b32_e32 v13, v5
	global_store_b128 v[0:1], v[13:16], off offset:8
.LBB0_358:
	s_wait_alu 0xfffe
	s_or_b32 exec_lo, exec_lo, s7
	v_lshlrev_b64_e32 v[11:12], 12, v[11:12]
	s_mov_b32 s12, 0
	v_and_or_b32 v3, 0xffffff1d, v3, 34
	s_wait_alu 0xfffe
	s_mov_b32 s13, s12
	s_mov_b32 s14, s12
	;; [unrolled: 1-line block ×3, first 2 shown]
	v_add_co_u32 v9, vcc_lo, v9, v11
	s_wait_alu 0xfffd
	v_add_co_ci_u32_e64 v10, null, v10, v12, vcc_lo
	v_mov_b32_e32 v5, s22
	s_delay_alu instid0(VALU_DEP_3) | instskip(NEXT) | instid1(VALU_DEP_3)
	v_readfirstlane_b32 s16, v9
	v_readfirstlane_b32 s17, v10
	s_wait_alu 0xfffe
	v_dual_mov_b32 v9, s12 :: v_dual_mov_b32 v12, s15
	v_dual_mov_b32 v10, s13 :: v_dual_mov_b32 v11, s14
	s_clause 0x3
	global_store_b128 v31, v[3:6], s[16:17]
	global_store_b128 v31, v[9:12], s[16:17] offset:16
	global_store_b128 v31, v[9:12], s[16:17] offset:32
	;; [unrolled: 1-line block ×3, first 2 shown]
	s_and_saveexec_b32 s3, s2
	s_cbranch_execz .LBB0_365
; %bb.359:
	v_mov_b32_e32 v9, 0
	s_mov_b32 s7, exec_lo
	s_clause 0x1
	global_load_b64 v[12:13], v9, s[8:9] offset:32 scope:SCOPE_SYS
	global_load_b64 v[3:4], v9, s[8:9] offset:40
	v_dual_mov_b32 v10, s10 :: v_dual_mov_b32 v11, s11
	s_wait_loadcnt 0x0
	v_and_b32_e32 v4, s11, v4
	v_and_b32_e32 v3, s10, v3
	s_delay_alu instid0(VALU_DEP_2) | instskip(NEXT) | instid1(VALU_DEP_2)
	v_mul_lo_u32 v4, 24, v4
	v_mul_lo_u32 v5, 0, v3
	v_mul_hi_u32 v6, 24, v3
	v_mul_lo_u32 v3, 24, v3
	s_delay_alu instid0(VALU_DEP_3) | instskip(NEXT) | instid1(VALU_DEP_2)
	v_add_nc_u32_e32 v4, v4, v5
	v_add_co_u32 v7, vcc_lo, v7, v3
	s_delay_alu instid0(VALU_DEP_2) | instskip(SKIP_1) | instid1(VALU_DEP_1)
	v_add_nc_u32_e32 v4, v4, v6
	s_wait_alu 0xfffd
	v_add_co_ci_u32_e64 v8, null, v8, v4, vcc_lo
	global_store_b64 v[7:8], v[12:13], off
	global_wb scope:SCOPE_SYS
	s_wait_storecnt 0x0
	global_atomic_cmpswap_b64 v[5:6], v9, v[10:13], s[8:9] offset:32 th:TH_ATOMIC_RETURN scope:SCOPE_SYS
	s_wait_loadcnt 0x0
	v_cmpx_ne_u64_e64 v[5:6], v[12:13]
	s_cbranch_execz .LBB0_361
.LBB0_360:                              ; =>This Inner Loop Header: Depth=1
	v_dual_mov_b32 v3, s10 :: v_dual_mov_b32 v4, s11
	s_sleep 1
	global_store_b64 v[7:8], v[5:6], off
	global_wb scope:SCOPE_SYS
	s_wait_storecnt 0x0
	global_atomic_cmpswap_b64 v[3:4], v9, v[3:6], s[8:9] offset:32 th:TH_ATOMIC_RETURN scope:SCOPE_SYS
	s_wait_loadcnt 0x0
	v_cmp_eq_u64_e32 vcc_lo, v[3:4], v[5:6]
	v_dual_mov_b32 v6, v4 :: v_dual_mov_b32 v5, v3
	s_or_b32 s12, vcc_lo, s12
	s_wait_alu 0xfffe
	s_and_not1_b32 exec_lo, exec_lo, s12
	s_cbranch_execnz .LBB0_360
.LBB0_361:
	s_wait_alu 0xfffe
	s_or_b32 exec_lo, exec_lo, s7
	v_mov_b32_e32 v6, 0
	s_mov_b32 s12, exec_lo
	s_mov_b32 s7, exec_lo
	s_wait_alu 0xfffe
	v_mbcnt_lo_u32_b32 v5, s12, 0
	global_load_b64 v[3:4], v6, s[8:9] offset:16
	v_cmpx_eq_u32_e32 0, v5
	s_cbranch_execz .LBB0_363
; %bb.362:
	s_bcnt1_i32_b32 s12, s12
	s_wait_alu 0xfffe
	v_mov_b32_e32 v5, s12
	global_wb scope:SCOPE_SYS
	s_wait_loadcnt 0x0
	s_wait_storecnt 0x0
	global_atomic_add_u64 v[3:4], v[5:6], off offset:8 scope:SCOPE_SYS
.LBB0_363:
	s_or_b32 exec_lo, exec_lo, s7
	s_wait_loadcnt 0x0
	global_load_b64 v[5:6], v[3:4], off offset:16
	s_wait_loadcnt 0x0
	v_cmp_eq_u64_e32 vcc_lo, 0, v[5:6]
	s_cbranch_vccnz .LBB0_365
; %bb.364:
	global_load_b32 v3, v[3:4], off offset:24
	v_mov_b32_e32 v4, 0
	s_wait_loadcnt 0x0
	v_readfirstlane_b32 s7, v3
	global_wb scope:SCOPE_SYS
	s_wait_storecnt 0x0
	global_store_b64 v[5:6], v[3:4], off scope:SCOPE_SYS
	s_and_b32 m0, s7, 0xffffff
	s_sendmsg sendmsg(MSG_INTERRUPT)
.LBB0_365:
	s_wait_alu 0xfffe
	s_or_b32 exec_lo, exec_lo, s3
	s_branch .LBB0_369
.LBB0_366:                              ;   in Loop: Header=BB0_369 Depth=1
	s_wait_alu 0xfffe
	s_or_b32 exec_lo, exec_lo, s3
	s_delay_alu instid0(VALU_DEP_1)
	v_readfirstlane_b32 s3, v3
	s_cmp_eq_u32 s3, 0
	s_cbranch_scc1 .LBB0_368
; %bb.367:                              ;   in Loop: Header=BB0_369 Depth=1
	s_sleep 1
	s_cbranch_execnz .LBB0_369
	s_branch .LBB0_371
.LBB0_368:
	s_branch .LBB0_371
.LBB0_369:                              ; =>This Inner Loop Header: Depth=1
	v_mov_b32_e32 v3, 1
	s_and_saveexec_b32 s3, s2
	s_cbranch_execz .LBB0_366
; %bb.370:                              ;   in Loop: Header=BB0_369 Depth=1
	global_load_b32 v3, v[0:1], off offset:20 scope:SCOPE_SYS
	s_wait_loadcnt 0x0
	global_inv scope:SCOPE_SYS
	v_and_b32_e32 v3, 1, v3
	s_branch .LBB0_366
.LBB0_371:
	s_and_b32 exec_lo, exec_lo, s2
	s_cbranch_execz .LBB0_375
; %bb.372:
	v_mov_b32_e32 v7, 0
	s_clause 0x2
	global_load_b64 v[0:1], v7, s[8:9] offset:40
	global_load_b64 v[10:11], v7, s[8:9] offset:24 scope:SCOPE_SYS
	global_load_b64 v[3:4], v7, s[8:9]
	s_wait_loadcnt 0x2
	v_readfirstlane_b32 s12, v0
	v_readfirstlane_b32 s13, v1
	s_add_nc_u64 s[2:3], s[12:13], 1
	s_wait_alu 0xfffe
	s_add_nc_u64 s[10:11], s[2:3], s[10:11]
	s_wait_alu 0xfffe
	s_cmp_eq_u64 s[10:11], 0
	s_cselect_b32 s3, s3, s11
	s_cselect_b32 s2, s2, s10
	s_wait_alu 0xfffe
	v_mov_b32_e32 v9, s3
	s_and_b64 s[10:11], s[2:3], s[12:13]
	v_mov_b32_e32 v8, s2
	s_wait_alu 0xfffe
	s_mul_u64 s[10:11], s[10:11], 24
	s_wait_loadcnt 0x0
	s_wait_alu 0xfffe
	v_add_co_u32 v0, vcc_lo, v3, s10
	s_wait_alu 0xfffd
	v_add_co_ci_u32_e64 v1, null, s11, v4, vcc_lo
	global_store_b64 v[0:1], v[10:11], off
	global_wb scope:SCOPE_SYS
	s_wait_storecnt 0x0
	global_atomic_cmpswap_b64 v[5:6], v7, v[8:11], s[8:9] offset:24 th:TH_ATOMIC_RETURN scope:SCOPE_SYS
	s_wait_loadcnt 0x0
	v_cmp_ne_u64_e32 vcc_lo, v[5:6], v[10:11]
	s_and_b32 exec_lo, exec_lo, vcc_lo
	s_cbranch_execz .LBB0_375
; %bb.373:
	s_mov_b32 s7, 0
.LBB0_374:                              ; =>This Inner Loop Header: Depth=1
	v_dual_mov_b32 v3, s2 :: v_dual_mov_b32 v4, s3
	s_sleep 1
	global_store_b64 v[0:1], v[5:6], off
	global_wb scope:SCOPE_SYS
	s_wait_storecnt 0x0
	global_atomic_cmpswap_b64 v[3:4], v7, v[3:6], s[8:9] offset:24 th:TH_ATOMIC_RETURN scope:SCOPE_SYS
	s_wait_loadcnt 0x0
	v_cmp_eq_u64_e32 vcc_lo, v[3:4], v[5:6]
	v_dual_mov_b32 v6, v4 :: v_dual_mov_b32 v5, v3
	s_wait_alu 0xfffe
	s_or_b32 s7, vcc_lo, s7
	s_wait_alu 0xfffe
	s_and_not1_b32 exec_lo, exec_lo, s7
	s_cbranch_execnz .LBB0_374
.LBB0_375:
	s_wait_alu 0xfffe
	s_or_b32 exec_lo, exec_lo, s25
	s_wait_kmcnt 0x0
	s_cmp_eq_u32 s22, 0
	s_wait_loadcnt 0x0
	s_wait_storecnt 0x0
	s_cselect_b32 s18, -1, 0
	s_barrier_signal -1
	s_wait_alu 0xfffe
	s_and_b32 vcc_lo, exec_lo, s18
	s_barrier_wait -1
	global_inv scope:SCOPE_SE
	s_wait_alu 0xfffe
	s_cbranch_vccnz .LBB0_597
; %bb.376:
	s_add_co_i32 s2, s22, -1
	s_mov_b32 s18, -1
	s_wait_alu 0xfffe
	s_and_b32 s3, s22, s2
	s_wait_alu 0xfffe
	s_cmp_eq_u32 s3, 0
	s_cselect_b32 s3, -1, 0
	s_cmp_lt_u32 s22, 33
	s_cselect_b32 s7, -1, 0
	s_wait_alu 0xfffe
	s_and_b32 s3, s7, s3
	s_wait_alu 0xfffe
	s_and_b32 vcc_lo, exec_lo, s3
	s_wait_alu 0xfffe
	s_cbranch_vccz .LBB0_597
; %bb.377:
	s_cvt_f32_u32 s3, s22
	s_sub_co_i32 s7, 0, s22
	s_add_co_i32 s9, s2, s6
	v_mov_b32_e32 v31, 0
	s_wait_alu 0xfffe
	v_rcp_iflag_f32_e32 v0, s3
	s_delay_alu instid0(TRANS32_DEP_1) | instskip(SKIP_2) | instid1(SALU_CYCLE_2)
	v_readfirstlane_b32 s3, v0
	s_mul_f32 s3, s3, 0x4f7ffffe
	s_wait_alu 0xfffe
	s_cvt_u32_f32 s3, s3
	s_wait_alu 0xfffe
	s_delay_alu instid0(SALU_CYCLE_2)
	s_mul_i32 s8, s7, s3
	s_wait_alu 0xfffe
	s_mul_hi_u32 s8, s3, s8
	s_wait_alu 0xfffe
	s_add_co_i32 s3, s3, s8
	s_wait_alu 0xfffe
	s_mul_hi_u32 s8, s9, s3
	v_mad_co_u64_u32 v[28:29], null, v2, s3, 0
	s_wait_alu 0xfffe
	s_mul_i32 s10, s8, s22
	s_mov_b32 s3, 0
	s_wait_alu 0xfffe
	s_sub_co_i32 s9, s9, s10
	s_add_co_i32 s10, s8, 1
	s_wait_alu 0xfffe
	s_sub_co_i32 s11, s9, s22
	s_cmp_ge_u32 s9, s22
	s_cselect_b32 s8, s10, s8
	s_wait_alu 0xfffe
	s_cselect_b32 s9, s11, s9
	s_add_co_i32 s10, s8, 1
	s_wait_alu 0xfffe
	s_cmp_ge_u32 s9, s22
	s_cselect_b32 s8, s10, s8
	s_wait_alu 0xfffe
	s_mul_i32 s8, s8, s22
	s_wait_alu 0xfffe
	s_sub_co_i32 s9, s8, s22
	s_sub_co_i32 s6, s6, s8
	s_wait_alu 0xfffe
	v_cmp_le_u32_e32 vcc_lo, s9, v2
	s_wait_alu 0xfffd
	v_cndmask_b32_e64 v0, 0, s6, vcc_lo
	s_delay_alu instid0(VALU_DEP_1) | instskip(SKIP_2) | instid1(VALU_DEP_2)
	v_add_nc_u32_e32 v36, s22, v0
	v_and_b32_e32 v0, s2, v2
	s_mov_b32 s2, exec_lo
	v_cmpx_lt_u32_e32 1, v36
	s_cbranch_execz .LBB0_383
; %bb.378:
	v_and_b32_e32 v3, s7, v2
	v_mov_b32_e32 v1, v31
	s_delay_alu instid0(VALU_DEP_2) | instskip(NEXT) | instid1(VALU_DEP_2)
	v_ashrrev_i32_e32 v4, 31, v3
	v_lshlrev_b64_e32 v[6:7], 2, v[0:1]
	s_delay_alu instid0(VALU_DEP_2) | instskip(NEXT) | instid1(VALU_DEP_1)
	v_lshlrev_b64_e32 v[3:4], 2, v[3:4]
	v_add_co_u32 v1, vcc_lo, s24, v3
	s_wait_alu 0xfffd
	s_delay_alu instid0(VALU_DEP_2) | instskip(NEXT) | instid1(VALU_DEP_2)
	v_add_co_ci_u32_e64 v5, null, s23, v4, vcc_lo
	v_add_co_u32 v3, vcc_lo, v1, v6
	s_wait_alu 0xfffd
	s_delay_alu instid0(VALU_DEP_2)
	v_add_co_ci_u32_e64 v4, null, v5, v7, vcc_lo
	v_mov_b32_e32 v6, v36
	s_branch .LBB0_380
.LBB0_379:                              ;   in Loop: Header=BB0_380 Depth=1
	s_wait_alu 0xfffe
	s_or_b32 exec_lo, exec_lo, s6
	v_cmp_gt_u32_e32 vcc_lo, 4, v6
	v_mov_b32_e32 v6, v7
	s_wait_loadcnt 0x0
	global_inv scope:SCOPE_DEV
	s_or_b32 s3, vcc_lo, s3
	s_wait_alu 0xfffe
	s_and_not1_b32 exec_lo, exec_lo, s3
	s_cbranch_execz .LBB0_382
.LBB0_380:                              ; =>This Inner Loop Header: Depth=1
	s_delay_alu instid0(VALU_DEP_1)
	v_lshrrev_b32_e32 v7, 1, v6
	s_mov_b32 s6, exec_lo
	flat_store_b32 v[3:4], v34
	s_wait_storecnt 0x0
	s_wait_loadcnt_dscnt 0x0
	global_inv scope:SCOPE_DEV
	v_cmpx_lt_i32_e64 v0, v7
	s_cbranch_execz .LBB0_379
; %bb.381:                              ;   in Loop: Header=BB0_380 Depth=1
	v_add_nc_u32_e32 v30, v7, v0
	s_delay_alu instid0(VALU_DEP_1) | instskip(NEXT) | instid1(VALU_DEP_1)
	v_lshlrev_b64_e32 v[8:9], 2, v[30:31]
	v_add_co_u32 v8, vcc_lo, v1, v8
	s_wait_alu 0xfffd
	s_delay_alu instid0(VALU_DEP_2)
	v_add_co_ci_u32_e64 v9, null, v5, v9, vcc_lo
	flat_load_b32 v8, v[8:9]
	s_wait_loadcnt_dscnt 0x0
	v_add_nc_u32_e32 v34, v8, v34
	s_branch .LBB0_379
.LBB0_382:
	s_or_b32 exec_lo, exec_lo, s3
.LBB0_383:
	s_wait_alu 0xfffe
	s_or_b32 exec_lo, exec_lo, s2
	v_cmp_eq_u32_e64 s2, 0, v0
	s_mov_b32 s18, 0
	s_and_saveexec_b32 s19, s2
	s_cbranch_execz .LBB0_596
; %bb.384:
	s_load_b64 s[4:5], s[4:5], 0x50
	v_mbcnt_lo_u32_b32 v35, -1, 0
	v_mov_b32_e32 v0, 0
	v_mov_b32_e32 v1, 0
	s_delay_alu instid0(VALU_DEP_3) | instskip(SKIP_1) | instid1(VALU_DEP_1)
	v_readfirstlane_b32 s3, v35
	s_wait_alu 0xf1ff
	v_cmp_eq_u32_e64 s3, s3, v35
	s_and_saveexec_b32 s6, s3
	s_cbranch_execz .LBB0_390
; %bb.385:
	v_mov_b32_e32 v3, 0
	s_mov_b32 s7, exec_lo
	s_wait_kmcnt 0x0
	global_load_b64 v[6:7], v3, s[4:5] offset:24 scope:SCOPE_SYS
	s_wait_loadcnt 0x0
	global_inv scope:SCOPE_SYS
	s_clause 0x1
	global_load_b64 v[0:1], v3, s[4:5] offset:40
	global_load_b64 v[4:5], v3, s[4:5]
	s_wait_loadcnt 0x1
	v_and_b32_e32 v1, v1, v7
	v_and_b32_e32 v0, v0, v6
	s_delay_alu instid0(VALU_DEP_2) | instskip(NEXT) | instid1(VALU_DEP_2)
	v_mul_lo_u32 v1, 24, v1
	v_mul_lo_u32 v8, 0, v0
	v_mul_hi_u32 v9, 24, v0
	v_mul_lo_u32 v0, 24, v0
	s_delay_alu instid0(VALU_DEP_3) | instskip(SKIP_1) | instid1(VALU_DEP_2)
	v_add_nc_u32_e32 v1, v1, v8
	s_wait_loadcnt 0x0
	v_add_co_u32 v0, vcc_lo, v4, v0
	s_delay_alu instid0(VALU_DEP_2) | instskip(SKIP_1) | instid1(VALU_DEP_1)
	v_add_nc_u32_e32 v1, v1, v9
	s_wait_alu 0xfffd
	v_add_co_ci_u32_e64 v1, null, v5, v1, vcc_lo
	global_load_b64 v[4:5], v[0:1], off scope:SCOPE_SYS
	s_wait_loadcnt 0x0
	global_atomic_cmpswap_b64 v[0:1], v3, v[4:7], s[4:5] offset:24 th:TH_ATOMIC_RETURN scope:SCOPE_SYS
	s_wait_loadcnt 0x0
	global_inv scope:SCOPE_SYS
	v_cmpx_ne_u64_e64 v[0:1], v[6:7]
	s_cbranch_execz .LBB0_389
; %bb.386:
	s_mov_b32 s8, 0
.LBB0_387:                              ; =>This Inner Loop Header: Depth=1
	s_sleep 1
	s_clause 0x1
	global_load_b64 v[4:5], v3, s[4:5] offset:40
	global_load_b64 v[8:9], v3, s[4:5]
	v_dual_mov_b32 v7, v1 :: v_dual_mov_b32 v6, v0
	s_wait_loadcnt 0x1
	s_delay_alu instid0(VALU_DEP_1) | instskip(NEXT) | instid1(VALU_DEP_2)
	v_and_b32_e32 v0, v4, v6
	v_and_b32_e32 v4, v5, v7
	s_wait_loadcnt 0x0
	s_delay_alu instid0(VALU_DEP_2) | instskip(NEXT) | instid1(VALU_DEP_1)
	v_mad_co_u64_u32 v[0:1], null, v0, 24, v[8:9]
	v_mad_co_u64_u32 v[4:5], null, v4, 24, v[1:2]
	s_delay_alu instid0(VALU_DEP_1)
	v_mov_b32_e32 v1, v4
	global_load_b64 v[4:5], v[0:1], off scope:SCOPE_SYS
	s_wait_loadcnt 0x0
	global_atomic_cmpswap_b64 v[0:1], v3, v[4:7], s[4:5] offset:24 th:TH_ATOMIC_RETURN scope:SCOPE_SYS
	s_wait_loadcnt 0x0
	global_inv scope:SCOPE_SYS
	v_cmp_eq_u64_e32 vcc_lo, v[0:1], v[6:7]
	s_wait_alu 0xfffe
	s_or_b32 s8, vcc_lo, s8
	s_wait_alu 0xfffe
	s_and_not1_b32 exec_lo, exec_lo, s8
	s_cbranch_execnz .LBB0_387
; %bb.388:
	s_or_b32 exec_lo, exec_lo, s8
.LBB0_389:
	s_wait_alu 0xfffe
	s_or_b32 exec_lo, exec_lo, s7
.LBB0_390:
	s_wait_alu 0xfffe
	s_or_b32 exec_lo, exec_lo, s6
	v_readfirstlane_b32 s6, v0
	v_mov_b32_e32 v8, 0
	v_readfirstlane_b32 s7, v1
	s_mov_b32 s8, exec_lo
	s_wait_kmcnt 0x0
	s_clause 0x1
	global_load_b64 v[9:10], v8, s[4:5] offset:40
	global_load_b128 v[3:6], v8, s[4:5]
	s_wait_loadcnt 0x1
	s_wait_alu 0xf1ff
	v_and_b32_e32 v12, s7, v10
	v_and_b32_e32 v11, s6, v9
	s_delay_alu instid0(VALU_DEP_2) | instskip(NEXT) | instid1(VALU_DEP_2)
	v_mul_lo_u32 v0, 24, v12
	v_mul_lo_u32 v1, 0, v11
	v_mul_hi_u32 v7, 24, v11
	v_mul_lo_u32 v9, 24, v11
	s_delay_alu instid0(VALU_DEP_3) | instskip(NEXT) | instid1(VALU_DEP_1)
	v_add_nc_u32_e32 v0, v0, v1
	v_add_nc_u32_e32 v1, v0, v7
	s_wait_loadcnt 0x0
	s_delay_alu instid0(VALU_DEP_3) | instskip(SKIP_1) | instid1(VALU_DEP_2)
	v_add_co_u32 v0, vcc_lo, v3, v9
	s_wait_alu 0xfffd
	v_add_co_ci_u32_e64 v1, null, v4, v1, vcc_lo
	s_and_saveexec_b32 s9, s3
	s_cbranch_execz .LBB0_392
; %bb.391:
	s_wait_alu 0xfffe
	v_dual_mov_b32 v7, s8 :: v_dual_mov_b32 v10, 1
	v_mov_b32_e32 v9, 2
	global_store_b128 v[0:1], v[7:10], off offset:8
.LBB0_392:
	s_wait_alu 0xfffe
	s_or_b32 exec_lo, exec_lo, s9
	v_lshlrev_b64_e32 v[10:11], 12, v[11:12]
	v_dual_mov_b32 v7, 33 :: v_dual_lshlrev_b32 v30, 6, v35
	s_mov_b32 s8, 0
	v_mov_b32_e32 v9, v8
	s_wait_alu 0xfffe
	s_mov_b32 s11, s8
	v_add_co_u32 v5, vcc_lo, v5, v10
	s_wait_alu 0xfffd
	v_add_co_ci_u32_e64 v6, null, v6, v11, vcc_lo
	s_mov_b32 s9, s8
	v_add_co_u32 v11, vcc_lo, v5, v30
	s_mov_b32 s10, s8
	v_mov_b32_e32 v10, v8
	v_readfirstlane_b32 s12, v5
	v_readfirstlane_b32 s13, v6
	s_wait_alu 0xfffe
	v_dual_mov_b32 v16, s11 :: v_dual_mov_b32 v15, s10
	s_wait_alu 0xfffd
	v_add_co_ci_u32_e64 v12, null, 0, v6, vcc_lo
	v_dual_mov_b32 v14, s9 :: v_dual_mov_b32 v13, s8
	s_clause 0x3
	global_store_b128 v30, v[7:10], s[12:13]
	global_store_b128 v30, v[13:16], s[12:13] offset:16
	global_store_b128 v30, v[13:16], s[12:13] offset:32
	global_store_b128 v30, v[13:16], s[12:13] offset:48
	s_and_saveexec_b32 s8, s3
	s_cbranch_execz .LBB0_400
; %bb.393:
	v_mov_b32_e32 v9, 0
	s_mov_b32 s9, exec_lo
	s_clause 0x1
	global_load_b64 v[15:16], v9, s[4:5] offset:32 scope:SCOPE_SYS
	global_load_b64 v[5:6], v9, s[4:5] offset:40
	v_dual_mov_b32 v14, s7 :: v_dual_mov_b32 v13, s6
	s_wait_loadcnt 0x0
	v_and_b32_e32 v6, s7, v6
	v_and_b32_e32 v5, s6, v5
	s_delay_alu instid0(VALU_DEP_2) | instskip(NEXT) | instid1(VALU_DEP_2)
	v_mul_lo_u32 v6, 24, v6
	v_mul_lo_u32 v7, 0, v5
	v_mul_hi_u32 v8, 24, v5
	v_mul_lo_u32 v5, 24, v5
	s_delay_alu instid0(VALU_DEP_3) | instskip(NEXT) | instid1(VALU_DEP_2)
	v_add_nc_u32_e32 v6, v6, v7
	v_add_co_u32 v7, vcc_lo, v3, v5
	s_delay_alu instid0(VALU_DEP_2) | instskip(SKIP_1) | instid1(VALU_DEP_1)
	v_add_nc_u32_e32 v6, v6, v8
	s_wait_alu 0xfffd
	v_add_co_ci_u32_e64 v8, null, v4, v6, vcc_lo
	global_store_b64 v[7:8], v[15:16], off
	global_wb scope:SCOPE_SYS
	s_wait_storecnt 0x0
	global_atomic_cmpswap_b64 v[5:6], v9, v[13:16], s[4:5] offset:32 th:TH_ATOMIC_RETURN scope:SCOPE_SYS
	s_wait_loadcnt 0x0
	v_cmpx_ne_u64_e64 v[5:6], v[15:16]
	s_cbranch_execz .LBB0_396
; %bb.394:
	s_mov_b32 s10, 0
.LBB0_395:                              ; =>This Inner Loop Header: Depth=1
	v_dual_mov_b32 v3, s6 :: v_dual_mov_b32 v4, s7
	s_sleep 1
	global_store_b64 v[7:8], v[5:6], off
	global_wb scope:SCOPE_SYS
	s_wait_storecnt 0x0
	global_atomic_cmpswap_b64 v[3:4], v9, v[3:6], s[4:5] offset:32 th:TH_ATOMIC_RETURN scope:SCOPE_SYS
	s_wait_loadcnt 0x0
	v_cmp_eq_u64_e32 vcc_lo, v[3:4], v[5:6]
	v_dual_mov_b32 v6, v4 :: v_dual_mov_b32 v5, v3
	s_wait_alu 0xfffe
	s_or_b32 s10, vcc_lo, s10
	s_wait_alu 0xfffe
	s_and_not1_b32 exec_lo, exec_lo, s10
	s_cbranch_execnz .LBB0_395
.LBB0_396:
	s_wait_alu 0xfffe
	s_or_b32 exec_lo, exec_lo, s9
	v_mov_b32_e32 v6, 0
	s_mov_b32 s10, exec_lo
	s_mov_b32 s9, exec_lo
	s_wait_alu 0xfffe
	v_mbcnt_lo_u32_b32 v5, s10, 0
	global_load_b64 v[3:4], v6, s[4:5] offset:16
	v_cmpx_eq_u32_e32 0, v5
	s_cbranch_execz .LBB0_398
; %bb.397:
	s_bcnt1_i32_b32 s10, s10
	s_wait_alu 0xfffe
	v_mov_b32_e32 v5, s10
	global_wb scope:SCOPE_SYS
	s_wait_loadcnt 0x0
	s_wait_storecnt 0x0
	global_atomic_add_u64 v[3:4], v[5:6], off offset:8 scope:SCOPE_SYS
.LBB0_398:
	s_or_b32 exec_lo, exec_lo, s9
	s_wait_loadcnt 0x0
	global_load_b64 v[5:6], v[3:4], off offset:16
	s_wait_loadcnt 0x0
	v_cmp_eq_u64_e32 vcc_lo, 0, v[5:6]
	s_cbranch_vccnz .LBB0_400
; %bb.399:
	global_load_b32 v3, v[3:4], off offset:24
	v_mov_b32_e32 v4, 0
	s_wait_loadcnt 0x0
	v_readfirstlane_b32 s9, v3
	global_wb scope:SCOPE_SYS
	s_wait_storecnt 0x0
	global_store_b64 v[5:6], v[3:4], off scope:SCOPE_SYS
	s_and_b32 m0, s9, 0xffffff
	s_sendmsg sendmsg(MSG_INTERRUPT)
.LBB0_400:
	s_wait_alu 0xfffe
	s_or_b32 exec_lo, exec_lo, s8
	s_branch .LBB0_404
.LBB0_401:                              ;   in Loop: Header=BB0_404 Depth=1
	s_wait_alu 0xfffe
	s_or_b32 exec_lo, exec_lo, s8
	s_delay_alu instid0(VALU_DEP_1)
	v_readfirstlane_b32 s8, v3
	s_cmp_eq_u32 s8, 0
	s_cbranch_scc1 .LBB0_403
; %bb.402:                              ;   in Loop: Header=BB0_404 Depth=1
	s_sleep 1
	s_cbranch_execnz .LBB0_404
	s_branch .LBB0_406
.LBB0_403:
	s_branch .LBB0_406
.LBB0_404:                              ; =>This Inner Loop Header: Depth=1
	v_mov_b32_e32 v3, 1
	s_and_saveexec_b32 s8, s3
	s_cbranch_execz .LBB0_401
; %bb.405:                              ;   in Loop: Header=BB0_404 Depth=1
	global_load_b32 v3, v[0:1], off offset:20 scope:SCOPE_SYS
	s_wait_loadcnt 0x0
	global_inv scope:SCOPE_SYS
	v_and_b32_e32 v3, 1, v3
	s_branch .LBB0_401
.LBB0_406:
	global_load_b64 v[3:4], v[11:12], off
	s_and_saveexec_b32 s8, s3
	s_cbranch_execz .LBB0_410
; %bb.407:
	v_mov_b32_e32 v9, 0
	s_clause 0x2
	global_load_b64 v[0:1], v9, s[4:5] offset:40
	global_load_b64 v[12:13], v9, s[4:5] offset:24 scope:SCOPE_SYS
	global_load_b64 v[5:6], v9, s[4:5]
	s_wait_loadcnt 0x2
	v_readfirstlane_b32 s10, v0
	v_readfirstlane_b32 s11, v1
	s_add_nc_u64 s[12:13], s[10:11], 1
	s_wait_alu 0xfffe
	s_add_nc_u64 s[6:7], s[12:13], s[6:7]
	s_wait_alu 0xfffe
	s_cmp_eq_u64 s[6:7], 0
	s_cselect_b32 s7, s13, s7
	s_cselect_b32 s6, s12, s6
	s_wait_alu 0xfffe
	v_mov_b32_e32 v11, s7
	s_and_b64 s[10:11], s[6:7], s[10:11]
	v_mov_b32_e32 v10, s6
	s_wait_alu 0xfffe
	s_mul_u64 s[10:11], s[10:11], 24
	s_wait_loadcnt 0x0
	s_wait_alu 0xfffe
	v_add_co_u32 v0, vcc_lo, v5, s10
	s_wait_alu 0xfffd
	v_add_co_ci_u32_e64 v1, null, s11, v6, vcc_lo
	global_store_b64 v[0:1], v[12:13], off
	global_wb scope:SCOPE_SYS
	s_wait_storecnt 0x0
	global_atomic_cmpswap_b64 v[7:8], v9, v[10:13], s[4:5] offset:24 th:TH_ATOMIC_RETURN scope:SCOPE_SYS
	s_wait_loadcnt 0x0
	v_cmp_ne_u64_e32 vcc_lo, v[7:8], v[12:13]
	s_and_b32 exec_lo, exec_lo, vcc_lo
	s_cbranch_execz .LBB0_410
; %bb.408:
	s_mov_b32 s3, 0
.LBB0_409:                              ; =>This Inner Loop Header: Depth=1
	v_dual_mov_b32 v5, s6 :: v_dual_mov_b32 v6, s7
	s_sleep 1
	global_store_b64 v[0:1], v[7:8], off
	global_wb scope:SCOPE_SYS
	s_wait_storecnt 0x0
	global_atomic_cmpswap_b64 v[5:6], v9, v[5:8], s[4:5] offset:24 th:TH_ATOMIC_RETURN scope:SCOPE_SYS
	s_wait_loadcnt 0x0
	v_cmp_eq_u64_e32 vcc_lo, v[5:6], v[7:8]
	v_dual_mov_b32 v8, v6 :: v_dual_mov_b32 v7, v5
	s_wait_alu 0xfffe
	s_or_b32 s3, vcc_lo, s3
	s_wait_alu 0xfffe
	s_and_not1_b32 exec_lo, exec_lo, s3
	s_cbranch_execnz .LBB0_409
.LBB0_410:
	s_wait_alu 0xfffe
	s_or_b32 exec_lo, exec_lo, s8
	s_getpc_b64 s[6:7]
	s_wait_alu 0xfffe
	s_sext_i32_i16 s7, s7
	s_add_co_u32 s6, s6, .str.2@rel32@lo+12
	s_wait_alu 0xfffe
	s_add_co_ci_u32 s7, s7, .str.2@rel32@hi+24
	s_wait_alu 0xfffe
	s_cmp_lg_u64 s[6:7], 0
	s_cbranch_scc0 .LBB0_489
; %bb.411:
	s_wait_loadcnt 0x0
	v_dual_mov_b32 v10, 0 :: v_dual_and_b32 v37, 2, v3
	v_dual_mov_b32 v6, v4 :: v_dual_and_b32 v5, -3, v3
	v_dual_mov_b32 v11, 2 :: v_dual_mov_b32 v12, 1
	s_mov_b64 s[8:9], 0x64
	s_branch .LBB0_413
.LBB0_412:                              ;   in Loop: Header=BB0_413 Depth=1
	s_wait_alu 0xfffe
	s_or_b32 exec_lo, exec_lo, s14
	s_sub_nc_u64 s[8:9], s[8:9], s[10:11]
	s_add_nc_u64 s[6:7], s[6:7], s[10:11]
	s_wait_alu 0xfffe
	s_cmp_lg_u64 s[8:9], 0
	s_cbranch_scc0 .LBB0_488
.LBB0_413:                              ; =>This Loop Header: Depth=1
                                        ;     Child Loop BB0_416 Depth 2
                                        ;     Child Loop BB0_423 Depth 2
	;; [unrolled: 1-line block ×11, first 2 shown]
	s_wait_alu 0xfffe
	v_cmp_lt_u64_e64 s3, s[8:9], 56
	v_cmp_gt_u64_e64 s12, s[8:9], 7
	s_and_b32 s3, s3, exec_lo
	s_cselect_b32 s11, s9, 0
	s_cselect_b32 s10, s8, 56
	s_and_b32 vcc_lo, exec_lo, s12
	s_wait_alu 0xfffe
	s_cbranch_vccnz .LBB0_418
; %bb.414:                              ;   in Loop: Header=BB0_413 Depth=1
	v_mov_b32_e32 v7, 0
	v_mov_b32_e32 v8, 0
	s_cmp_eq_u64 s[8:9], 0
	s_cbranch_scc1 .LBB0_417
; %bb.415:                              ;   in Loop: Header=BB0_413 Depth=1
	s_mov_b64 s[12:13], 0
	s_mov_b64 s[14:15], 0
.LBB0_416:                              ;   Parent Loop BB0_413 Depth=1
                                        ; =>  This Inner Loop Header: Depth=2
	s_wait_alu 0xfffe
	s_add_nc_u64 s[16:17], s[6:7], s[14:15]
	s_add_nc_u64 s[14:15], s[14:15], 1
	global_load_u8 v0, v10, s[16:17]
	s_wait_alu 0xfffe
	s_cmp_lg_u32 s10, s14
	s_wait_loadcnt 0x0
	v_and_b32_e32 v9, 0xffff, v0
	s_delay_alu instid0(VALU_DEP_1) | instskip(SKIP_1) | instid1(VALU_DEP_1)
	v_lshlrev_b64_e32 v[0:1], s12, v[9:10]
	s_add_nc_u64 s[12:13], s[12:13], 8
	v_or_b32_e32 v7, v0, v7
	s_delay_alu instid0(VALU_DEP_2)
	v_or_b32_e32 v8, v1, v8
	s_cbranch_scc1 .LBB0_416
.LBB0_417:                              ;   in Loop: Header=BB0_413 Depth=1
	s_mov_b64 s[14:15], s[6:7]
	s_mov_b32 s3, 0
	s_cbranch_execz .LBB0_419
	s_branch .LBB0_420
.LBB0_418:                              ;   in Loop: Header=BB0_413 Depth=1
	s_add_nc_u64 s[14:15], s[6:7], 8
	s_mov_b32 s3, 0
.LBB0_419:                              ;   in Loop: Header=BB0_413 Depth=1
	global_load_b64 v[7:8], v10, s[6:7]
	s_add_co_i32 s3, s10, -8
.LBB0_420:                              ;   in Loop: Header=BB0_413 Depth=1
	s_wait_alu 0xfffe
	s_cmp_gt_u32 s3, 7
	s_cbranch_scc1 .LBB0_425
; %bb.421:                              ;   in Loop: Header=BB0_413 Depth=1
	v_mov_b32_e32 v13, 0
	v_mov_b32_e32 v14, 0
	s_cmp_eq_u32 s3, 0
	s_cbranch_scc1 .LBB0_424
; %bb.422:                              ;   in Loop: Header=BB0_413 Depth=1
	s_mov_b64 s[12:13], 0
	s_mov_b64 s[16:17], 0
.LBB0_423:                              ;   Parent Loop BB0_413 Depth=1
                                        ; =>  This Inner Loop Header: Depth=2
	s_wait_alu 0xfffe
	s_add_nc_u64 s[20:21], s[14:15], s[16:17]
	s_add_nc_u64 s[16:17], s[16:17], 1
	global_load_u8 v0, v10, s[20:21]
	s_wait_alu 0xfffe
	s_cmp_lg_u32 s3, s16
	s_wait_loadcnt 0x0
	v_and_b32_e32 v9, 0xffff, v0
	s_delay_alu instid0(VALU_DEP_1) | instskip(SKIP_1) | instid1(VALU_DEP_1)
	v_lshlrev_b64_e32 v[0:1], s12, v[9:10]
	s_add_nc_u64 s[12:13], s[12:13], 8
	v_or_b32_e32 v13, v0, v13
	s_delay_alu instid0(VALU_DEP_2)
	v_or_b32_e32 v14, v1, v14
	s_cbranch_scc1 .LBB0_423
.LBB0_424:                              ;   in Loop: Header=BB0_413 Depth=1
	s_mov_b64 s[12:13], s[14:15]
	s_mov_b32 s20, 0
	s_cbranch_execz .LBB0_426
	s_branch .LBB0_427
.LBB0_425:                              ;   in Loop: Header=BB0_413 Depth=1
	s_add_nc_u64 s[12:13], s[14:15], 8
                                        ; implicit-def: $vgpr13_vgpr14
	s_mov_b32 s20, 0
.LBB0_426:                              ;   in Loop: Header=BB0_413 Depth=1
	global_load_b64 v[13:14], v10, s[14:15]
	s_add_co_i32 s20, s3, -8
.LBB0_427:                              ;   in Loop: Header=BB0_413 Depth=1
	s_delay_alu instid0(SALU_CYCLE_1)
	s_cmp_gt_u32 s20, 7
	s_cbranch_scc1 .LBB0_432
; %bb.428:                              ;   in Loop: Header=BB0_413 Depth=1
	v_mov_b32_e32 v15, 0
	v_mov_b32_e32 v16, 0
	s_cmp_eq_u32 s20, 0
	s_cbranch_scc1 .LBB0_431
; %bb.429:                              ;   in Loop: Header=BB0_413 Depth=1
	s_mov_b64 s[14:15], 0
	s_mov_b64 s[16:17], 0
.LBB0_430:                              ;   Parent Loop BB0_413 Depth=1
                                        ; =>  This Inner Loop Header: Depth=2
	s_wait_alu 0xfffe
	s_add_nc_u64 s[24:25], s[12:13], s[16:17]
	s_add_nc_u64 s[16:17], s[16:17], 1
	global_load_u8 v0, v10, s[24:25]
	s_wait_alu 0xfffe
	s_cmp_lg_u32 s20, s16
	s_wait_loadcnt 0x0
	v_and_b32_e32 v9, 0xffff, v0
	s_delay_alu instid0(VALU_DEP_1) | instskip(SKIP_1) | instid1(VALU_DEP_1)
	v_lshlrev_b64_e32 v[0:1], s14, v[9:10]
	s_add_nc_u64 s[14:15], s[14:15], 8
	v_or_b32_e32 v15, v0, v15
	s_delay_alu instid0(VALU_DEP_2)
	v_or_b32_e32 v16, v1, v16
	s_cbranch_scc1 .LBB0_430
.LBB0_431:                              ;   in Loop: Header=BB0_413 Depth=1
	s_wait_alu 0xfffe
	s_mov_b64 s[14:15], s[12:13]
	s_mov_b32 s3, 0
	s_cbranch_execz .LBB0_433
	s_branch .LBB0_434
.LBB0_432:                              ;   in Loop: Header=BB0_413 Depth=1
	s_wait_alu 0xfffe
	s_add_nc_u64 s[14:15], s[12:13], 8
	s_mov_b32 s3, 0
.LBB0_433:                              ;   in Loop: Header=BB0_413 Depth=1
	global_load_b64 v[15:16], v10, s[12:13]
	s_add_co_i32 s3, s20, -8
.LBB0_434:                              ;   in Loop: Header=BB0_413 Depth=1
	s_wait_alu 0xfffe
	s_cmp_gt_u32 s3, 7
	s_cbranch_scc1 .LBB0_439
; %bb.435:                              ;   in Loop: Header=BB0_413 Depth=1
	v_mov_b32_e32 v17, 0
	v_mov_b32_e32 v18, 0
	s_cmp_eq_u32 s3, 0
	s_cbranch_scc1 .LBB0_438
; %bb.436:                              ;   in Loop: Header=BB0_413 Depth=1
	s_mov_b64 s[12:13], 0
	s_mov_b64 s[16:17], 0
.LBB0_437:                              ;   Parent Loop BB0_413 Depth=1
                                        ; =>  This Inner Loop Header: Depth=2
	s_wait_alu 0xfffe
	s_add_nc_u64 s[20:21], s[14:15], s[16:17]
	s_add_nc_u64 s[16:17], s[16:17], 1
	global_load_u8 v0, v10, s[20:21]
	s_wait_alu 0xfffe
	s_cmp_lg_u32 s3, s16
	s_wait_loadcnt 0x0
	v_and_b32_e32 v9, 0xffff, v0
	s_delay_alu instid0(VALU_DEP_1) | instskip(SKIP_1) | instid1(VALU_DEP_1)
	v_lshlrev_b64_e32 v[0:1], s12, v[9:10]
	s_add_nc_u64 s[12:13], s[12:13], 8
	v_or_b32_e32 v17, v0, v17
	s_delay_alu instid0(VALU_DEP_2)
	v_or_b32_e32 v18, v1, v18
	s_cbranch_scc1 .LBB0_437
.LBB0_438:                              ;   in Loop: Header=BB0_413 Depth=1
	s_mov_b64 s[12:13], s[14:15]
	s_mov_b32 s20, 0
	s_cbranch_execz .LBB0_440
	s_branch .LBB0_441
.LBB0_439:                              ;   in Loop: Header=BB0_413 Depth=1
	s_add_nc_u64 s[12:13], s[14:15], 8
                                        ; implicit-def: $vgpr17_vgpr18
	s_mov_b32 s20, 0
.LBB0_440:                              ;   in Loop: Header=BB0_413 Depth=1
	global_load_b64 v[17:18], v10, s[14:15]
	s_add_co_i32 s20, s3, -8
.LBB0_441:                              ;   in Loop: Header=BB0_413 Depth=1
	s_delay_alu instid0(SALU_CYCLE_1)
	s_cmp_gt_u32 s20, 7
	s_cbranch_scc1 .LBB0_446
; %bb.442:                              ;   in Loop: Header=BB0_413 Depth=1
	v_mov_b32_e32 v19, 0
	v_mov_b32_e32 v20, 0
	s_cmp_eq_u32 s20, 0
	s_cbranch_scc1 .LBB0_445
; %bb.443:                              ;   in Loop: Header=BB0_413 Depth=1
	s_mov_b64 s[14:15], 0
	s_mov_b64 s[16:17], 0
.LBB0_444:                              ;   Parent Loop BB0_413 Depth=1
                                        ; =>  This Inner Loop Header: Depth=2
	s_wait_alu 0xfffe
	s_add_nc_u64 s[24:25], s[12:13], s[16:17]
	s_add_nc_u64 s[16:17], s[16:17], 1
	global_load_u8 v0, v10, s[24:25]
	s_wait_alu 0xfffe
	s_cmp_lg_u32 s20, s16
	s_wait_loadcnt 0x0
	v_and_b32_e32 v9, 0xffff, v0
	s_delay_alu instid0(VALU_DEP_1) | instskip(SKIP_1) | instid1(VALU_DEP_1)
	v_lshlrev_b64_e32 v[0:1], s14, v[9:10]
	s_add_nc_u64 s[14:15], s[14:15], 8
	v_or_b32_e32 v19, v0, v19
	s_delay_alu instid0(VALU_DEP_2)
	v_or_b32_e32 v20, v1, v20
	s_cbranch_scc1 .LBB0_444
.LBB0_445:                              ;   in Loop: Header=BB0_413 Depth=1
	s_wait_alu 0xfffe
	s_mov_b64 s[14:15], s[12:13]
	s_mov_b32 s3, 0
	s_cbranch_execz .LBB0_447
	s_branch .LBB0_448
.LBB0_446:                              ;   in Loop: Header=BB0_413 Depth=1
	s_wait_alu 0xfffe
	s_add_nc_u64 s[14:15], s[12:13], 8
	s_mov_b32 s3, 0
.LBB0_447:                              ;   in Loop: Header=BB0_413 Depth=1
	global_load_b64 v[19:20], v10, s[12:13]
	s_add_co_i32 s3, s20, -8
.LBB0_448:                              ;   in Loop: Header=BB0_413 Depth=1
	s_wait_alu 0xfffe
	s_cmp_gt_u32 s3, 7
	s_cbranch_scc1 .LBB0_453
; %bb.449:                              ;   in Loop: Header=BB0_413 Depth=1
	v_mov_b32_e32 v21, 0
	v_mov_b32_e32 v22, 0
	s_cmp_eq_u32 s3, 0
	s_cbranch_scc1 .LBB0_452
; %bb.450:                              ;   in Loop: Header=BB0_413 Depth=1
	s_mov_b64 s[12:13], 0
	s_mov_b64 s[16:17], 0
.LBB0_451:                              ;   Parent Loop BB0_413 Depth=1
                                        ; =>  This Inner Loop Header: Depth=2
	s_wait_alu 0xfffe
	s_add_nc_u64 s[20:21], s[14:15], s[16:17]
	s_add_nc_u64 s[16:17], s[16:17], 1
	global_load_u8 v0, v10, s[20:21]
	s_wait_alu 0xfffe
	s_cmp_lg_u32 s3, s16
	s_wait_loadcnt 0x0
	v_and_b32_e32 v9, 0xffff, v0
	s_delay_alu instid0(VALU_DEP_1) | instskip(SKIP_1) | instid1(VALU_DEP_1)
	v_lshlrev_b64_e32 v[0:1], s12, v[9:10]
	s_add_nc_u64 s[12:13], s[12:13], 8
	v_or_b32_e32 v21, v0, v21
	s_delay_alu instid0(VALU_DEP_2)
	v_or_b32_e32 v22, v1, v22
	s_cbranch_scc1 .LBB0_451
.LBB0_452:                              ;   in Loop: Header=BB0_413 Depth=1
	s_mov_b64 s[12:13], s[14:15]
	s_mov_b32 s20, 0
	s_cbranch_execz .LBB0_454
	s_branch .LBB0_455
.LBB0_453:                              ;   in Loop: Header=BB0_413 Depth=1
	s_add_nc_u64 s[12:13], s[14:15], 8
                                        ; implicit-def: $vgpr21_vgpr22
	s_mov_b32 s20, 0
.LBB0_454:                              ;   in Loop: Header=BB0_413 Depth=1
	global_load_b64 v[21:22], v10, s[14:15]
	s_add_co_i32 s20, s3, -8
.LBB0_455:                              ;   in Loop: Header=BB0_413 Depth=1
	s_delay_alu instid0(SALU_CYCLE_1)
	s_cmp_gt_u32 s20, 7
	s_cbranch_scc1 .LBB0_460
; %bb.456:                              ;   in Loop: Header=BB0_413 Depth=1
	v_mov_b32_e32 v23, 0
	v_mov_b32_e32 v24, 0
	s_cmp_eq_u32 s20, 0
	s_cbranch_scc1 .LBB0_459
; %bb.457:                              ;   in Loop: Header=BB0_413 Depth=1
	s_mov_b64 s[14:15], 0
	s_wait_alu 0xfffe
	s_mov_b64 s[16:17], s[12:13]
.LBB0_458:                              ;   Parent Loop BB0_413 Depth=1
                                        ; =>  This Inner Loop Header: Depth=2
	global_load_u8 v0, v10, s[16:17]
	s_add_co_i32 s20, s20, -1
	s_wait_alu 0xfffe
	s_add_nc_u64 s[16:17], s[16:17], 1
	s_cmp_lg_u32 s20, 0
	s_wait_loadcnt 0x0
	v_and_b32_e32 v9, 0xffff, v0
	s_delay_alu instid0(VALU_DEP_1) | instskip(SKIP_1) | instid1(VALU_DEP_1)
	v_lshlrev_b64_e32 v[0:1], s14, v[9:10]
	s_add_nc_u64 s[14:15], s[14:15], 8
	v_or_b32_e32 v23, v0, v23
	s_delay_alu instid0(VALU_DEP_2)
	v_or_b32_e32 v24, v1, v24
	s_cbranch_scc1 .LBB0_458
.LBB0_459:                              ;   in Loop: Header=BB0_413 Depth=1
	s_cbranch_execz .LBB0_461
	s_branch .LBB0_462
.LBB0_460:                              ;   in Loop: Header=BB0_413 Depth=1
.LBB0_461:                              ;   in Loop: Header=BB0_413 Depth=1
	global_load_b64 v[23:24], v10, s[12:13]
.LBB0_462:                              ;   in Loop: Header=BB0_413 Depth=1
	v_readfirstlane_b32 s3, v35
	v_mov_b32_e32 v0, 0
	v_mov_b32_e32 v1, 0
	s_wait_alu 0xf1ff
	s_delay_alu instid0(VALU_DEP_3)
	v_cmp_eq_u32_e64 s3, s3, v35
	s_and_saveexec_b32 s12, s3
	s_cbranch_execz .LBB0_468
; %bb.463:                              ;   in Loop: Header=BB0_413 Depth=1
	global_load_b64 v[27:28], v10, s[4:5] offset:24 scope:SCOPE_SYS
	s_wait_loadcnt 0x0
	global_inv scope:SCOPE_SYS
	s_clause 0x1
	global_load_b64 v[0:1], v10, s[4:5] offset:40
	global_load_b64 v[25:26], v10, s[4:5]
	s_mov_b32 s13, exec_lo
	s_wait_loadcnt 0x1
	v_and_b32_e32 v1, v1, v28
	v_and_b32_e32 v0, v0, v27
	s_delay_alu instid0(VALU_DEP_2) | instskip(NEXT) | instid1(VALU_DEP_2)
	v_mul_lo_u32 v1, 24, v1
	v_mul_lo_u32 v9, 0, v0
	v_mul_hi_u32 v32, 24, v0
	v_mul_lo_u32 v0, 24, v0
	s_delay_alu instid0(VALU_DEP_3) | instskip(SKIP_1) | instid1(VALU_DEP_2)
	v_add_nc_u32_e32 v1, v1, v9
	s_wait_loadcnt 0x0
	v_add_co_u32 v0, vcc_lo, v25, v0
	s_delay_alu instid0(VALU_DEP_2) | instskip(SKIP_1) | instid1(VALU_DEP_1)
	v_add_nc_u32_e32 v1, v1, v32
	s_wait_alu 0xfffd
	v_add_co_ci_u32_e64 v1, null, v26, v1, vcc_lo
	global_load_b64 v[25:26], v[0:1], off scope:SCOPE_SYS
	s_wait_loadcnt 0x0
	global_atomic_cmpswap_b64 v[0:1], v10, v[25:28], s[4:5] offset:24 th:TH_ATOMIC_RETURN scope:SCOPE_SYS
	s_wait_loadcnt 0x0
	global_inv scope:SCOPE_SYS
	v_cmpx_ne_u64_e64 v[0:1], v[27:28]
	s_cbranch_execz .LBB0_467
; %bb.464:                              ;   in Loop: Header=BB0_413 Depth=1
	s_mov_b32 s14, 0
.LBB0_465:                              ;   Parent Loop BB0_413 Depth=1
                                        ; =>  This Inner Loop Header: Depth=2
	s_sleep 1
	s_clause 0x1
	global_load_b64 v[25:26], v10, s[4:5] offset:40
	global_load_b64 v[32:33], v10, s[4:5]
	v_dual_mov_b32 v28, v1 :: v_dual_mov_b32 v27, v0
	s_wait_loadcnt 0x1
	s_delay_alu instid0(VALU_DEP_1) | instskip(NEXT) | instid1(VALU_DEP_2)
	v_and_b32_e32 v0, v25, v27
	v_and_b32_e32 v9, v26, v28
	s_wait_loadcnt 0x0
	s_delay_alu instid0(VALU_DEP_2) | instskip(NEXT) | instid1(VALU_DEP_1)
	v_mad_co_u64_u32 v[0:1], null, v0, 24, v[32:33]
	v_mad_co_u64_u32 v[25:26], null, v9, 24, v[1:2]
	s_delay_alu instid0(VALU_DEP_1)
	v_mov_b32_e32 v1, v25
	global_load_b64 v[25:26], v[0:1], off scope:SCOPE_SYS
	s_wait_loadcnt 0x0
	global_atomic_cmpswap_b64 v[0:1], v10, v[25:28], s[4:5] offset:24 th:TH_ATOMIC_RETURN scope:SCOPE_SYS
	s_wait_loadcnt 0x0
	global_inv scope:SCOPE_SYS
	v_cmp_eq_u64_e32 vcc_lo, v[0:1], v[27:28]
	s_wait_alu 0xfffe
	s_or_b32 s14, vcc_lo, s14
	s_wait_alu 0xfffe
	s_and_not1_b32 exec_lo, exec_lo, s14
	s_cbranch_execnz .LBB0_465
; %bb.466:                              ;   in Loop: Header=BB0_413 Depth=1
	s_or_b32 exec_lo, exec_lo, s14
.LBB0_467:                              ;   in Loop: Header=BB0_413 Depth=1
	s_wait_alu 0xfffe
	s_or_b32 exec_lo, exec_lo, s13
.LBB0_468:                              ;   in Loop: Header=BB0_413 Depth=1
	s_wait_alu 0xfffe
	s_or_b32 exec_lo, exec_lo, s12
	s_clause 0x1
	global_load_b64 v[32:33], v10, s[4:5] offset:40
	global_load_b128 v[25:28], v10, s[4:5]
	v_readfirstlane_b32 s13, v1
	v_readfirstlane_b32 s12, v0
	s_mov_b32 s14, exec_lo
	s_wait_loadcnt 0x1
	s_wait_alu 0xf1ff
	v_and_b32_e32 v33, s13, v33
	v_and_b32_e32 v32, s12, v32
	s_delay_alu instid0(VALU_DEP_2) | instskip(NEXT) | instid1(VALU_DEP_2)
	v_mul_lo_u32 v0, 24, v33
	v_mul_lo_u32 v1, 0, v32
	v_mul_hi_u32 v9, 24, v32
	v_mul_lo_u32 v38, 24, v32
	s_delay_alu instid0(VALU_DEP_3) | instskip(NEXT) | instid1(VALU_DEP_1)
	v_add_nc_u32_e32 v0, v0, v1
	v_add_nc_u32_e32 v1, v0, v9
	s_wait_loadcnt 0x0
	s_delay_alu instid0(VALU_DEP_3) | instskip(SKIP_1) | instid1(VALU_DEP_2)
	v_add_co_u32 v0, vcc_lo, v25, v38
	s_wait_alu 0xfffd
	v_add_co_ci_u32_e64 v1, null, v26, v1, vcc_lo
	s_and_saveexec_b32 s15, s3
	s_cbranch_execz .LBB0_470
; %bb.469:                              ;   in Loop: Header=BB0_413 Depth=1
	s_wait_alu 0xfffe
	v_mov_b32_e32 v9, s14
	global_store_b128 v[0:1], v[9:12], off offset:8
.LBB0_470:                              ;   in Loop: Header=BB0_413 Depth=1
	s_wait_alu 0xfffe
	s_or_b32 exec_lo, exec_lo, s15
	v_cmp_lt_u64_e64 vcc_lo, s[8:9], 57
	v_lshlrev_b64_e32 v[32:33], 12, v[32:33]
	v_and_b32_e32 v5, 0xffffff1f, v5
	s_lshl_b32 s14, s10, 2
	s_wait_alu 0xfffe
	s_add_co_i32 s14, s14, 28
	s_wait_alu 0xfffd
	v_cndmask_b32_e32 v9, 0, v37, vcc_lo
	v_add_co_u32 v27, vcc_lo, v27, v32
	s_wait_alu 0xfffd
	v_add_co_ci_u32_e64 v28, null, v28, v33, vcc_lo
	s_delay_alu instid0(VALU_DEP_3) | instskip(NEXT) | instid1(VALU_DEP_2)
	v_or_b32_e32 v5, v5, v9
	v_readfirstlane_b32 s15, v28
	s_wait_alu 0xfffe
	s_delay_alu instid0(VALU_DEP_2)
	v_and_or_b32 v5, 0x1e0, s14, v5
	v_readfirstlane_b32 s14, v27
	s_clause 0x3
	global_store_b128 v30, v[5:8], s[14:15]
	global_store_b128 v30, v[13:16], s[14:15] offset:16
	global_store_b128 v30, v[17:20], s[14:15] offset:32
	;; [unrolled: 1-line block ×3, first 2 shown]
	s_and_saveexec_b32 s14, s3
	s_cbranch_execz .LBB0_478
; %bb.471:                              ;   in Loop: Header=BB0_413 Depth=1
	s_clause 0x1
	global_load_b64 v[17:18], v10, s[4:5] offset:32 scope:SCOPE_SYS
	global_load_b64 v[5:6], v10, s[4:5] offset:40
	s_mov_b32 s15, exec_lo
	v_dual_mov_b32 v15, s12 :: v_dual_mov_b32 v16, s13
	s_wait_loadcnt 0x0
	v_and_b32_e32 v5, s12, v5
	v_and_b32_e32 v6, s13, v6
	s_delay_alu instid0(VALU_DEP_2) | instskip(NEXT) | instid1(VALU_DEP_2)
	v_mul_lo_u32 v7, 0, v5
	v_mul_lo_u32 v6, 24, v6
	v_mul_hi_u32 v8, 24, v5
	v_mul_lo_u32 v5, 24, v5
	s_delay_alu instid0(VALU_DEP_3) | instskip(NEXT) | instid1(VALU_DEP_2)
	v_add_nc_u32_e32 v6, v6, v7
	v_add_co_u32 v13, vcc_lo, v25, v5
	s_delay_alu instid0(VALU_DEP_2) | instskip(SKIP_1) | instid1(VALU_DEP_1)
	v_add_nc_u32_e32 v6, v6, v8
	s_wait_alu 0xfffd
	v_add_co_ci_u32_e64 v14, null, v26, v6, vcc_lo
	global_store_b64 v[13:14], v[17:18], off
	global_wb scope:SCOPE_SYS
	s_wait_storecnt 0x0
	global_atomic_cmpswap_b64 v[7:8], v10, v[15:18], s[4:5] offset:32 th:TH_ATOMIC_RETURN scope:SCOPE_SYS
	s_wait_loadcnt 0x0
	v_cmpx_ne_u64_e64 v[7:8], v[17:18]
	s_cbranch_execz .LBB0_474
; %bb.472:                              ;   in Loop: Header=BB0_413 Depth=1
	s_mov_b32 s16, 0
.LBB0_473:                              ;   Parent Loop BB0_413 Depth=1
                                        ; =>  This Inner Loop Header: Depth=2
	v_dual_mov_b32 v5, s12 :: v_dual_mov_b32 v6, s13
	s_sleep 1
	global_store_b64 v[13:14], v[7:8], off
	global_wb scope:SCOPE_SYS
	s_wait_storecnt 0x0
	global_atomic_cmpswap_b64 v[5:6], v10, v[5:8], s[4:5] offset:32 th:TH_ATOMIC_RETURN scope:SCOPE_SYS
	s_wait_loadcnt 0x0
	v_cmp_eq_u64_e32 vcc_lo, v[5:6], v[7:8]
	v_dual_mov_b32 v8, v6 :: v_dual_mov_b32 v7, v5
	s_wait_alu 0xfffe
	s_or_b32 s16, vcc_lo, s16
	s_wait_alu 0xfffe
	s_and_not1_b32 exec_lo, exec_lo, s16
	s_cbranch_execnz .LBB0_473
.LBB0_474:                              ;   in Loop: Header=BB0_413 Depth=1
	s_wait_alu 0xfffe
	s_or_b32 exec_lo, exec_lo, s15
	global_load_b64 v[5:6], v10, s[4:5] offset:16
	s_mov_b32 s16, exec_lo
	s_mov_b32 s15, exec_lo
	s_wait_alu 0xfffe
	v_mbcnt_lo_u32_b32 v7, s16, 0
	s_delay_alu instid0(VALU_DEP_1)
	v_cmpx_eq_u32_e32 0, v7
	s_cbranch_execz .LBB0_476
; %bb.475:                              ;   in Loop: Header=BB0_413 Depth=1
	s_bcnt1_i32_b32 s16, s16
	s_wait_alu 0xfffe
	v_mov_b32_e32 v9, s16
	global_wb scope:SCOPE_SYS
	s_wait_loadcnt 0x0
	s_wait_storecnt 0x0
	global_atomic_add_u64 v[5:6], v[9:10], off offset:8 scope:SCOPE_SYS
.LBB0_476:                              ;   in Loop: Header=BB0_413 Depth=1
	s_or_b32 exec_lo, exec_lo, s15
	s_wait_loadcnt 0x0
	global_load_b64 v[7:8], v[5:6], off offset:16
	s_wait_loadcnt 0x0
	v_cmp_eq_u64_e32 vcc_lo, 0, v[7:8]
	s_cbranch_vccnz .LBB0_478
; %bb.477:                              ;   in Loop: Header=BB0_413 Depth=1
	global_load_b32 v9, v[5:6], off offset:24
	s_wait_loadcnt 0x0
	v_readfirstlane_b32 s15, v9
	global_wb scope:SCOPE_SYS
	s_wait_storecnt 0x0
	global_store_b64 v[7:8], v[9:10], off scope:SCOPE_SYS
	s_and_b32 m0, s15, 0xffffff
	s_sendmsg sendmsg(MSG_INTERRUPT)
.LBB0_478:                              ;   in Loop: Header=BB0_413 Depth=1
	s_wait_alu 0xfffe
	s_or_b32 exec_lo, exec_lo, s14
	v_add_co_u32 v5, vcc_lo, v27, v30
	s_wait_alu 0xfffd
	v_add_co_ci_u32_e64 v6, null, 0, v28, vcc_lo
	s_branch .LBB0_482
.LBB0_479:                              ;   in Loop: Header=BB0_482 Depth=2
	s_wait_alu 0xfffe
	s_or_b32 exec_lo, exec_lo, s14
	s_delay_alu instid0(VALU_DEP_1)
	v_readfirstlane_b32 s14, v7
	s_cmp_eq_u32 s14, 0
	s_cbranch_scc1 .LBB0_481
; %bb.480:                              ;   in Loop: Header=BB0_482 Depth=2
	s_sleep 1
	s_cbranch_execnz .LBB0_482
	s_branch .LBB0_484
.LBB0_481:                              ;   in Loop: Header=BB0_413 Depth=1
	s_branch .LBB0_484
.LBB0_482:                              ;   Parent Loop BB0_413 Depth=1
                                        ; =>  This Inner Loop Header: Depth=2
	v_mov_b32_e32 v7, 1
	s_and_saveexec_b32 s14, s3
	s_cbranch_execz .LBB0_479
; %bb.483:                              ;   in Loop: Header=BB0_482 Depth=2
	global_load_b32 v7, v[0:1], off offset:20 scope:SCOPE_SYS
	s_wait_loadcnt 0x0
	global_inv scope:SCOPE_SYS
	v_and_b32_e32 v7, 1, v7
	s_branch .LBB0_479
.LBB0_484:                              ;   in Loop: Header=BB0_413 Depth=1
	global_load_b64 v[5:6], v[5:6], off
	s_and_saveexec_b32 s14, s3
	s_cbranch_execz .LBB0_412
; %bb.485:                              ;   in Loop: Header=BB0_413 Depth=1
	s_clause 0x2
	global_load_b64 v[0:1], v10, s[4:5] offset:40
	global_load_b64 v[17:18], v10, s[4:5] offset:24 scope:SCOPE_SYS
	global_load_b64 v[7:8], v10, s[4:5]
	s_wait_loadcnt 0x2
	v_readfirstlane_b32 s16, v0
	v_readfirstlane_b32 s17, v1
	s_add_nc_u64 s[20:21], s[16:17], 1
	s_delay_alu instid0(SALU_CYCLE_1)
	s_add_nc_u64 s[12:13], s[20:21], s[12:13]
	s_wait_alu 0xfffe
	s_cmp_eq_u64 s[12:13], 0
	s_cselect_b32 s13, s21, s13
	s_cselect_b32 s12, s20, s12
	s_wait_alu 0xfffe
	v_dual_mov_b32 v16, s13 :: v_dual_mov_b32 v15, s12
	s_and_b64 s[16:17], s[12:13], s[16:17]
	s_wait_alu 0xfffe
	s_mul_u64 s[16:17], s[16:17], 24
	s_wait_loadcnt 0x0
	s_wait_alu 0xfffe
	v_add_co_u32 v0, vcc_lo, v7, s16
	s_wait_alu 0xfffd
	v_add_co_ci_u32_e64 v1, null, s17, v8, vcc_lo
	global_store_b64 v[0:1], v[17:18], off
	global_wb scope:SCOPE_SYS
	s_wait_storecnt 0x0
	global_atomic_cmpswap_b64 v[15:16], v10, v[15:18], s[4:5] offset:24 th:TH_ATOMIC_RETURN scope:SCOPE_SYS
	s_wait_loadcnt 0x0
	v_cmp_ne_u64_e32 vcc_lo, v[15:16], v[17:18]
	s_and_b32 exec_lo, exec_lo, vcc_lo
	s_cbranch_execz .LBB0_412
; %bb.486:                              ;   in Loop: Header=BB0_413 Depth=1
	s_mov_b32 s3, 0
.LBB0_487:                              ;   Parent Loop BB0_413 Depth=1
                                        ; =>  This Inner Loop Header: Depth=2
	v_dual_mov_b32 v13, s12 :: v_dual_mov_b32 v14, s13
	s_sleep 1
	global_store_b64 v[0:1], v[15:16], off
	global_wb scope:SCOPE_SYS
	s_wait_storecnt 0x0
	global_atomic_cmpswap_b64 v[7:8], v10, v[13:16], s[4:5] offset:24 th:TH_ATOMIC_RETURN scope:SCOPE_SYS
	s_wait_loadcnt 0x0
	v_cmp_eq_u64_e32 vcc_lo, v[7:8], v[15:16]
	v_dual_mov_b32 v16, v8 :: v_dual_mov_b32 v15, v7
	s_wait_alu 0xfffe
	s_or_b32 s3, vcc_lo, s3
	s_wait_alu 0xfffe
	s_and_not1_b32 exec_lo, exec_lo, s3
	s_cbranch_execnz .LBB0_487
	s_branch .LBB0_412
.LBB0_488:
	s_branch .LBB0_517
.LBB0_489:
                                        ; implicit-def: $vgpr5_vgpr6
	s_cbranch_execz .LBB0_517
; %bb.490:
	v_readfirstlane_b32 s3, v35
	v_mov_b32_e32 v0, 0
	v_mov_b32_e32 v1, 0
	s_wait_alu 0xf1ff
	s_delay_alu instid0(VALU_DEP_3)
	v_cmp_eq_u32_e64 s3, s3, v35
	s_and_saveexec_b32 s6, s3
	s_cbranch_execz .LBB0_496
; %bb.491:
	s_wait_loadcnt 0x0
	v_mov_b32_e32 v5, 0
	s_mov_b32 s7, exec_lo
	global_load_b64 v[8:9], v5, s[4:5] offset:24 scope:SCOPE_SYS
	s_wait_loadcnt 0x0
	global_inv scope:SCOPE_SYS
	s_clause 0x1
	global_load_b64 v[0:1], v5, s[4:5] offset:40
	global_load_b64 v[6:7], v5, s[4:5]
	s_wait_loadcnt 0x1
	v_and_b32_e32 v1, v1, v9
	v_and_b32_e32 v0, v0, v8
	s_delay_alu instid0(VALU_DEP_2) | instskip(NEXT) | instid1(VALU_DEP_2)
	v_mul_lo_u32 v1, 24, v1
	v_mul_lo_u32 v10, 0, v0
	v_mul_hi_u32 v11, 24, v0
	v_mul_lo_u32 v0, 24, v0
	s_delay_alu instid0(VALU_DEP_3) | instskip(SKIP_1) | instid1(VALU_DEP_2)
	v_add_nc_u32_e32 v1, v1, v10
	s_wait_loadcnt 0x0
	v_add_co_u32 v0, vcc_lo, v6, v0
	s_delay_alu instid0(VALU_DEP_2) | instskip(SKIP_1) | instid1(VALU_DEP_1)
	v_add_nc_u32_e32 v1, v1, v11
	s_wait_alu 0xfffd
	v_add_co_ci_u32_e64 v1, null, v7, v1, vcc_lo
	global_load_b64 v[6:7], v[0:1], off scope:SCOPE_SYS
	s_wait_loadcnt 0x0
	global_atomic_cmpswap_b64 v[0:1], v5, v[6:9], s[4:5] offset:24 th:TH_ATOMIC_RETURN scope:SCOPE_SYS
	s_wait_loadcnt 0x0
	global_inv scope:SCOPE_SYS
	v_cmpx_ne_u64_e64 v[0:1], v[8:9]
	s_cbranch_execz .LBB0_495
; %bb.492:
	s_mov_b32 s8, 0
.LBB0_493:                              ; =>This Inner Loop Header: Depth=1
	s_sleep 1
	s_clause 0x1
	global_load_b64 v[6:7], v5, s[4:5] offset:40
	global_load_b64 v[10:11], v5, s[4:5]
	v_dual_mov_b32 v9, v1 :: v_dual_mov_b32 v8, v0
	s_wait_loadcnt 0x1
	s_delay_alu instid0(VALU_DEP_1) | instskip(NEXT) | instid1(VALU_DEP_2)
	v_and_b32_e32 v0, v6, v8
	v_and_b32_e32 v6, v7, v9
	s_wait_loadcnt 0x0
	s_delay_alu instid0(VALU_DEP_2) | instskip(NEXT) | instid1(VALU_DEP_1)
	v_mad_co_u64_u32 v[0:1], null, v0, 24, v[10:11]
	v_mad_co_u64_u32 v[6:7], null, v6, 24, v[1:2]
	s_delay_alu instid0(VALU_DEP_1)
	v_mov_b32_e32 v1, v6
	global_load_b64 v[6:7], v[0:1], off scope:SCOPE_SYS
	s_wait_loadcnt 0x0
	global_atomic_cmpswap_b64 v[0:1], v5, v[6:9], s[4:5] offset:24 th:TH_ATOMIC_RETURN scope:SCOPE_SYS
	s_wait_loadcnt 0x0
	global_inv scope:SCOPE_SYS
	v_cmp_eq_u64_e32 vcc_lo, v[0:1], v[8:9]
	s_wait_alu 0xfffe
	s_or_b32 s8, vcc_lo, s8
	s_wait_alu 0xfffe
	s_and_not1_b32 exec_lo, exec_lo, s8
	s_cbranch_execnz .LBB0_493
; %bb.494:
	s_or_b32 exec_lo, exec_lo, s8
.LBB0_495:
	s_wait_alu 0xfffe
	s_or_b32 exec_lo, exec_lo, s7
.LBB0_496:
	s_wait_alu 0xfffe
	s_or_b32 exec_lo, exec_lo, s6
	v_readfirstlane_b32 s7, v1
	s_wait_loadcnt 0x0
	v_mov_b32_e32 v5, 0
	v_readfirstlane_b32 s6, v0
	s_mov_b32 s8, exec_lo
	s_clause 0x1
	global_load_b64 v[11:12], v5, s[4:5] offset:40
	global_load_b128 v[7:10], v5, s[4:5]
	s_wait_loadcnt 0x1
	s_wait_alu 0xf1ff
	v_and_b32_e32 v12, s7, v12
	v_and_b32_e32 v11, s6, v11
	s_delay_alu instid0(VALU_DEP_2) | instskip(NEXT) | instid1(VALU_DEP_2)
	v_mul_lo_u32 v0, 24, v12
	v_mul_lo_u32 v1, 0, v11
	v_mul_hi_u32 v6, 24, v11
	v_mul_lo_u32 v13, 24, v11
	s_delay_alu instid0(VALU_DEP_3) | instskip(NEXT) | instid1(VALU_DEP_1)
	v_add_nc_u32_e32 v0, v0, v1
	v_add_nc_u32_e32 v1, v0, v6
	s_wait_loadcnt 0x0
	s_delay_alu instid0(VALU_DEP_3) | instskip(SKIP_1) | instid1(VALU_DEP_2)
	v_add_co_u32 v0, vcc_lo, v7, v13
	s_wait_alu 0xfffd
	v_add_co_ci_u32_e64 v1, null, v8, v1, vcc_lo
	s_and_saveexec_b32 s9, s3
	s_cbranch_execz .LBB0_498
; %bb.497:
	s_wait_alu 0xfffe
	v_dual_mov_b32 v13, s8 :: v_dual_mov_b32 v14, v5
	v_dual_mov_b32 v15, 2 :: v_dual_mov_b32 v16, 1
	global_store_b128 v[0:1], v[13:16], off offset:8
.LBB0_498:
	s_wait_alu 0xfffe
	s_or_b32 exec_lo, exec_lo, s9
	v_lshlrev_b64_e32 v[11:12], 12, v[11:12]
	s_mov_b32 s8, 0
	v_and_or_b32 v3, 0xffffff1f, v3, 32
	s_wait_alu 0xfffe
	s_mov_b32 s11, s8
	s_mov_b32 s9, s8
	;; [unrolled: 1-line block ×3, first 2 shown]
	v_add_co_u32 v9, vcc_lo, v9, v11
	s_wait_alu 0xfffd
	v_add_co_ci_u32_e64 v10, null, v10, v12, vcc_lo
	v_mov_b32_e32 v6, v5
	s_delay_alu instid0(VALU_DEP_3) | instskip(SKIP_1) | instid1(VALU_DEP_4)
	v_readfirstlane_b32 s12, v9
	v_add_co_u32 v9, vcc_lo, v9, v30
	v_readfirstlane_b32 s13, v10
	s_wait_alu 0xfffe
	v_dual_mov_b32 v14, s11 :: v_dual_mov_b32 v11, s8
	s_wait_alu 0xfffd
	v_add_co_ci_u32_e64 v10, null, 0, v10, vcc_lo
	v_dual_mov_b32 v13, s10 :: v_dual_mov_b32 v12, s9
	s_clause 0x3
	global_store_b128 v30, v[3:6], s[12:13]
	global_store_b128 v30, v[11:14], s[12:13] offset:16
	global_store_b128 v30, v[11:14], s[12:13] offset:32
	;; [unrolled: 1-line block ×3, first 2 shown]
	s_and_saveexec_b32 s8, s3
	s_cbranch_execz .LBB0_506
; %bb.499:
	v_mov_b32_e32 v11, 0
	s_mov_b32 s9, exec_lo
	s_clause 0x1
	global_load_b64 v[14:15], v11, s[4:5] offset:32 scope:SCOPE_SYS
	global_load_b64 v[3:4], v11, s[4:5] offset:40
	v_dual_mov_b32 v12, s6 :: v_dual_mov_b32 v13, s7
	s_wait_loadcnt 0x0
	v_and_b32_e32 v4, s7, v4
	v_and_b32_e32 v3, s6, v3
	s_delay_alu instid0(VALU_DEP_2) | instskip(NEXT) | instid1(VALU_DEP_2)
	v_mul_lo_u32 v4, 24, v4
	v_mul_lo_u32 v5, 0, v3
	v_mul_hi_u32 v6, 24, v3
	v_mul_lo_u32 v3, 24, v3
	s_delay_alu instid0(VALU_DEP_3) | instskip(NEXT) | instid1(VALU_DEP_2)
	v_add_nc_u32_e32 v4, v4, v5
	v_add_co_u32 v7, vcc_lo, v7, v3
	s_delay_alu instid0(VALU_DEP_2) | instskip(SKIP_1) | instid1(VALU_DEP_1)
	v_add_nc_u32_e32 v4, v4, v6
	s_wait_alu 0xfffd
	v_add_co_ci_u32_e64 v8, null, v8, v4, vcc_lo
	global_store_b64 v[7:8], v[14:15], off
	global_wb scope:SCOPE_SYS
	s_wait_storecnt 0x0
	global_atomic_cmpswap_b64 v[5:6], v11, v[12:15], s[4:5] offset:32 th:TH_ATOMIC_RETURN scope:SCOPE_SYS
	s_wait_loadcnt 0x0
	v_cmpx_ne_u64_e64 v[5:6], v[14:15]
	s_cbranch_execz .LBB0_502
; %bb.500:
	s_mov_b32 s10, 0
.LBB0_501:                              ; =>This Inner Loop Header: Depth=1
	v_dual_mov_b32 v3, s6 :: v_dual_mov_b32 v4, s7
	s_sleep 1
	global_store_b64 v[7:8], v[5:6], off
	global_wb scope:SCOPE_SYS
	s_wait_storecnt 0x0
	global_atomic_cmpswap_b64 v[3:4], v11, v[3:6], s[4:5] offset:32 th:TH_ATOMIC_RETURN scope:SCOPE_SYS
	s_wait_loadcnt 0x0
	v_cmp_eq_u64_e32 vcc_lo, v[3:4], v[5:6]
	v_dual_mov_b32 v6, v4 :: v_dual_mov_b32 v5, v3
	s_wait_alu 0xfffe
	s_or_b32 s10, vcc_lo, s10
	s_wait_alu 0xfffe
	s_and_not1_b32 exec_lo, exec_lo, s10
	s_cbranch_execnz .LBB0_501
.LBB0_502:
	s_wait_alu 0xfffe
	s_or_b32 exec_lo, exec_lo, s9
	v_mov_b32_e32 v6, 0
	s_mov_b32 s10, exec_lo
	s_mov_b32 s9, exec_lo
	s_wait_alu 0xfffe
	v_mbcnt_lo_u32_b32 v5, s10, 0
	global_load_b64 v[3:4], v6, s[4:5] offset:16
	v_cmpx_eq_u32_e32 0, v5
	s_cbranch_execz .LBB0_504
; %bb.503:
	s_bcnt1_i32_b32 s10, s10
	s_wait_alu 0xfffe
	v_mov_b32_e32 v5, s10
	global_wb scope:SCOPE_SYS
	s_wait_loadcnt 0x0
	s_wait_storecnt 0x0
	global_atomic_add_u64 v[3:4], v[5:6], off offset:8 scope:SCOPE_SYS
.LBB0_504:
	s_or_b32 exec_lo, exec_lo, s9
	s_wait_loadcnt 0x0
	global_load_b64 v[5:6], v[3:4], off offset:16
	s_wait_loadcnt 0x0
	v_cmp_eq_u64_e32 vcc_lo, 0, v[5:6]
	s_cbranch_vccnz .LBB0_506
; %bb.505:
	global_load_b32 v3, v[3:4], off offset:24
	v_mov_b32_e32 v4, 0
	s_wait_loadcnt 0x0
	v_readfirstlane_b32 s9, v3
	global_wb scope:SCOPE_SYS
	s_wait_storecnt 0x0
	global_store_b64 v[5:6], v[3:4], off scope:SCOPE_SYS
	s_and_b32 m0, s9, 0xffffff
	s_sendmsg sendmsg(MSG_INTERRUPT)
.LBB0_506:
	s_wait_alu 0xfffe
	s_or_b32 exec_lo, exec_lo, s8
	s_branch .LBB0_510
.LBB0_507:                              ;   in Loop: Header=BB0_510 Depth=1
	s_wait_alu 0xfffe
	s_or_b32 exec_lo, exec_lo, s8
	s_delay_alu instid0(VALU_DEP_1)
	v_readfirstlane_b32 s8, v3
	s_cmp_eq_u32 s8, 0
	s_cbranch_scc1 .LBB0_509
; %bb.508:                              ;   in Loop: Header=BB0_510 Depth=1
	s_sleep 1
	s_cbranch_execnz .LBB0_510
	s_branch .LBB0_512
.LBB0_509:
	s_branch .LBB0_512
.LBB0_510:                              ; =>This Inner Loop Header: Depth=1
	v_mov_b32_e32 v3, 1
	s_and_saveexec_b32 s8, s3
	s_cbranch_execz .LBB0_507
; %bb.511:                              ;   in Loop: Header=BB0_510 Depth=1
	global_load_b32 v3, v[0:1], off offset:20 scope:SCOPE_SYS
	s_wait_loadcnt 0x0
	global_inv scope:SCOPE_SYS
	v_and_b32_e32 v3, 1, v3
	s_branch .LBB0_507
.LBB0_512:
	global_load_b64 v[5:6], v[9:10], off
	s_and_saveexec_b32 s8, s3
	s_cbranch_execz .LBB0_516
; %bb.513:
	v_mov_b32_e32 v3, 0
	s_clause 0x2
	global_load_b64 v[0:1], v3, s[4:5] offset:40
	global_load_b64 v[11:12], v3, s[4:5] offset:24 scope:SCOPE_SYS
	global_load_b64 v[7:8], v3, s[4:5]
	s_wait_loadcnt 0x2
	v_readfirstlane_b32 s10, v0
	v_readfirstlane_b32 s11, v1
	s_add_nc_u64 s[12:13], s[10:11], 1
	s_wait_alu 0xfffe
	s_add_nc_u64 s[6:7], s[12:13], s[6:7]
	s_wait_alu 0xfffe
	s_cmp_eq_u64 s[6:7], 0
	s_cselect_b32 s7, s13, s7
	s_cselect_b32 s6, s12, s6
	s_wait_alu 0xfffe
	v_mov_b32_e32 v10, s7
	s_and_b64 s[10:11], s[6:7], s[10:11]
	v_mov_b32_e32 v9, s6
	s_wait_alu 0xfffe
	s_mul_u64 s[10:11], s[10:11], 24
	s_wait_loadcnt 0x0
	s_wait_alu 0xfffe
	v_add_co_u32 v0, vcc_lo, v7, s10
	s_wait_alu 0xfffd
	v_add_co_ci_u32_e64 v1, null, s11, v8, vcc_lo
	global_store_b64 v[0:1], v[11:12], off
	global_wb scope:SCOPE_SYS
	s_wait_storecnt 0x0
	global_atomic_cmpswap_b64 v[9:10], v3, v[9:12], s[4:5] offset:24 th:TH_ATOMIC_RETURN scope:SCOPE_SYS
	s_wait_loadcnt 0x0
	v_cmp_ne_u64_e32 vcc_lo, v[9:10], v[11:12]
	s_and_b32 exec_lo, exec_lo, vcc_lo
	s_cbranch_execz .LBB0_516
; %bb.514:
	s_mov_b32 s3, 0
.LBB0_515:                              ; =>This Inner Loop Header: Depth=1
	v_dual_mov_b32 v7, s6 :: v_dual_mov_b32 v8, s7
	s_sleep 1
	global_store_b64 v[0:1], v[9:10], off
	global_wb scope:SCOPE_SYS
	s_wait_storecnt 0x0
	global_atomic_cmpswap_b64 v[7:8], v3, v[7:10], s[4:5] offset:24 th:TH_ATOMIC_RETURN scope:SCOPE_SYS
	s_wait_loadcnt 0x0
	v_cmp_eq_u64_e32 vcc_lo, v[7:8], v[9:10]
	v_dual_mov_b32 v10, v8 :: v_dual_mov_b32 v9, v7
	s_wait_alu 0xfffe
	s_or_b32 s3, vcc_lo, s3
	s_wait_alu 0xfffe
	s_and_not1_b32 exec_lo, exec_lo, s3
	s_cbranch_execnz .LBB0_515
.LBB0_516:
	s_wait_alu 0xfffe
	s_or_b32 exec_lo, exec_lo, s8
.LBB0_517:
	v_readfirstlane_b32 s3, v35
	v_mov_b32_e32 v0, 0
	v_mov_b32_e32 v1, 0
	s_wait_alu 0xf1ff
	s_delay_alu instid0(VALU_DEP_3)
	v_cmp_eq_u32_e64 s3, s3, v35
	s_and_saveexec_b32 s6, s3
	s_cbranch_execz .LBB0_523
; %bb.518:
	s_wait_loadcnt 0x0
	v_mov_b32_e32 v3, 0
	s_mov_b32 s7, exec_lo
	global_load_b64 v[9:10], v3, s[4:5] offset:24 scope:SCOPE_SYS
	s_wait_loadcnt 0x0
	global_inv scope:SCOPE_SYS
	s_clause 0x1
	global_load_b64 v[0:1], v3, s[4:5] offset:40
	global_load_b64 v[7:8], v3, s[4:5]
	s_wait_loadcnt 0x1
	v_and_b32_e32 v1, v1, v10
	v_and_b32_e32 v0, v0, v9
	s_delay_alu instid0(VALU_DEP_2) | instskip(NEXT) | instid1(VALU_DEP_2)
	v_mul_lo_u32 v1, 24, v1
	v_mul_lo_u32 v4, 0, v0
	v_mul_hi_u32 v11, 24, v0
	v_mul_lo_u32 v0, 24, v0
	s_delay_alu instid0(VALU_DEP_3) | instskip(SKIP_1) | instid1(VALU_DEP_2)
	v_add_nc_u32_e32 v1, v1, v4
	s_wait_loadcnt 0x0
	v_add_co_u32 v0, vcc_lo, v7, v0
	s_delay_alu instid0(VALU_DEP_2) | instskip(SKIP_1) | instid1(VALU_DEP_1)
	v_add_nc_u32_e32 v1, v1, v11
	s_wait_alu 0xfffd
	v_add_co_ci_u32_e64 v1, null, v8, v1, vcc_lo
	global_load_b64 v[7:8], v[0:1], off scope:SCOPE_SYS
	s_wait_loadcnt 0x0
	global_atomic_cmpswap_b64 v[0:1], v3, v[7:10], s[4:5] offset:24 th:TH_ATOMIC_RETURN scope:SCOPE_SYS
	s_wait_loadcnt 0x0
	global_inv scope:SCOPE_SYS
	v_cmpx_ne_u64_e64 v[0:1], v[9:10]
	s_cbranch_execz .LBB0_522
; %bb.519:
	s_mov_b32 s8, 0
.LBB0_520:                              ; =>This Inner Loop Header: Depth=1
	s_sleep 1
	s_clause 0x1
	global_load_b64 v[7:8], v3, s[4:5] offset:40
	global_load_b64 v[11:12], v3, s[4:5]
	v_dual_mov_b32 v10, v1 :: v_dual_mov_b32 v9, v0
	s_wait_loadcnt 0x1
	s_delay_alu instid0(VALU_DEP_1) | instskip(NEXT) | instid1(VALU_DEP_2)
	v_and_b32_e32 v0, v7, v9
	v_and_b32_e32 v4, v8, v10
	s_wait_loadcnt 0x0
	s_delay_alu instid0(VALU_DEP_2) | instskip(NEXT) | instid1(VALU_DEP_1)
	v_mad_co_u64_u32 v[0:1], null, v0, 24, v[11:12]
	v_mad_co_u64_u32 v[7:8], null, v4, 24, v[1:2]
	s_delay_alu instid0(VALU_DEP_1)
	v_mov_b32_e32 v1, v7
	global_load_b64 v[7:8], v[0:1], off scope:SCOPE_SYS
	s_wait_loadcnt 0x0
	global_atomic_cmpswap_b64 v[0:1], v3, v[7:10], s[4:5] offset:24 th:TH_ATOMIC_RETURN scope:SCOPE_SYS
	s_wait_loadcnt 0x0
	global_inv scope:SCOPE_SYS
	v_cmp_eq_u64_e32 vcc_lo, v[0:1], v[9:10]
	s_wait_alu 0xfffe
	s_or_b32 s8, vcc_lo, s8
	s_wait_alu 0xfffe
	s_and_not1_b32 exec_lo, exec_lo, s8
	s_cbranch_execnz .LBB0_520
; %bb.521:
	s_or_b32 exec_lo, exec_lo, s8
.LBB0_522:
	s_wait_alu 0xfffe
	s_or_b32 exec_lo, exec_lo, s7
.LBB0_523:
	s_wait_alu 0xfffe
	s_or_b32 exec_lo, exec_lo, s6
	v_readfirstlane_b32 s6, v0
	v_mov_b32_e32 v8, 0
	v_readfirstlane_b32 s7, v1
	s_mov_b32 s8, exec_lo
	s_wait_loadcnt 0x0
	s_clause 0x1
	global_load_b64 v[3:4], v8, s[4:5] offset:40
	global_load_b128 v[9:12], v8, s[4:5]
	s_wait_loadcnt 0x1
	s_wait_alu 0xf1ff
	v_and_b32_e32 v4, s7, v4
	v_and_b32_e32 v3, s6, v3
	s_delay_alu instid0(VALU_DEP_2) | instskip(NEXT) | instid1(VALU_DEP_2)
	v_mul_lo_u32 v0, 24, v4
	v_mul_lo_u32 v1, 0, v3
	v_mul_hi_u32 v7, 24, v3
	v_mul_lo_u32 v13, 24, v3
	s_delay_alu instid0(VALU_DEP_3) | instskip(NEXT) | instid1(VALU_DEP_1)
	v_add_nc_u32_e32 v0, v0, v1
	v_add_nc_u32_e32 v1, v0, v7
	s_wait_loadcnt 0x0
	s_delay_alu instid0(VALU_DEP_3) | instskip(SKIP_1) | instid1(VALU_DEP_2)
	v_add_co_u32 v0, vcc_lo, v9, v13
	s_wait_alu 0xfffd
	v_add_co_ci_u32_e64 v1, null, v10, v1, vcc_lo
	s_and_saveexec_b32 s9, s3
	s_cbranch_execz .LBB0_525
; %bb.524:
	s_wait_alu 0xfffe
	v_dual_mov_b32 v7, s8 :: v_dual_mov_b32 v16, 1
	v_dual_mov_b32 v15, 2 :: v_dual_mov_b32 v14, v8
	s_delay_alu instid0(VALU_DEP_2)
	v_mov_b32_e32 v13, v7
	global_store_b128 v[0:1], v[13:16], off offset:8
.LBB0_525:
	s_wait_alu 0xfffe
	s_or_b32 exec_lo, exec_lo, s9
	v_lshlrev_b64_e32 v[3:4], 12, v[3:4]
	s_mov_b32 s8, 0
	v_and_or_b32 v5, 0xffffff1f, v5, 32
	s_wait_alu 0xfffe
	s_mov_b32 s11, s8
	s_mov_b32 s9, s8
	;; [unrolled: 1-line block ×3, first 2 shown]
	v_add_co_u32 v3, vcc_lo, v11, v3
	s_wait_alu 0xfffd
	v_add_co_ci_u32_e64 v4, null, v12, v4, vcc_lo
	s_wait_alu 0xfffe
	v_dual_mov_b32 v16, s11 :: v_dual_add_nc_u32 v7, -1, v36
	v_add_co_u32 v11, vcc_lo, v3, v30
	v_readfirstlane_b32 s12, v3
	v_readfirstlane_b32 s13, v4
	s_wait_alu 0xfffd
	v_add_co_ci_u32_e64 v12, null, 0, v4, vcc_lo
	v_dual_mov_b32 v15, s10 :: v_dual_mov_b32 v14, s9
	v_mov_b32_e32 v13, s8
	s_clause 0x3
	global_store_b128 v30, v[5:8], s[12:13]
	global_store_b128 v30, v[13:16], s[12:13] offset:16
	global_store_b128 v30, v[13:16], s[12:13] offset:32
	;; [unrolled: 1-line block ×3, first 2 shown]
	s_and_saveexec_b32 s8, s3
	s_cbranch_execz .LBB0_533
; %bb.526:
	v_mov_b32_e32 v13, 0
	s_mov_b32 s9, exec_lo
	s_clause 0x1
	global_load_b64 v[16:17], v13, s[4:5] offset:32 scope:SCOPE_SYS
	global_load_b64 v[3:4], v13, s[4:5] offset:40
	v_dual_mov_b32 v14, s6 :: v_dual_mov_b32 v15, s7
	s_wait_loadcnt 0x0
	v_and_b32_e32 v4, s7, v4
	v_and_b32_e32 v3, s6, v3
	s_delay_alu instid0(VALU_DEP_2) | instskip(NEXT) | instid1(VALU_DEP_2)
	v_mul_lo_u32 v4, 24, v4
	v_mul_lo_u32 v5, 0, v3
	v_mul_hi_u32 v6, 24, v3
	v_mul_lo_u32 v3, 24, v3
	s_delay_alu instid0(VALU_DEP_3) | instskip(NEXT) | instid1(VALU_DEP_2)
	v_add_nc_u32_e32 v4, v4, v5
	v_add_co_u32 v7, vcc_lo, v9, v3
	s_delay_alu instid0(VALU_DEP_2) | instskip(SKIP_1) | instid1(VALU_DEP_1)
	v_add_nc_u32_e32 v4, v4, v6
	s_wait_alu 0xfffd
	v_add_co_ci_u32_e64 v8, null, v10, v4, vcc_lo
	global_store_b64 v[7:8], v[16:17], off
	global_wb scope:SCOPE_SYS
	s_wait_storecnt 0x0
	global_atomic_cmpswap_b64 v[5:6], v13, v[14:17], s[4:5] offset:32 th:TH_ATOMIC_RETURN scope:SCOPE_SYS
	s_wait_loadcnt 0x0
	v_cmpx_ne_u64_e64 v[5:6], v[16:17]
	s_cbranch_execz .LBB0_529
; %bb.527:
	s_mov_b32 s10, 0
.LBB0_528:                              ; =>This Inner Loop Header: Depth=1
	v_dual_mov_b32 v3, s6 :: v_dual_mov_b32 v4, s7
	s_sleep 1
	global_store_b64 v[7:8], v[5:6], off
	global_wb scope:SCOPE_SYS
	s_wait_storecnt 0x0
	global_atomic_cmpswap_b64 v[3:4], v13, v[3:6], s[4:5] offset:32 th:TH_ATOMIC_RETURN scope:SCOPE_SYS
	s_wait_loadcnt 0x0
	v_cmp_eq_u64_e32 vcc_lo, v[3:4], v[5:6]
	v_dual_mov_b32 v6, v4 :: v_dual_mov_b32 v5, v3
	s_wait_alu 0xfffe
	s_or_b32 s10, vcc_lo, s10
	s_wait_alu 0xfffe
	s_and_not1_b32 exec_lo, exec_lo, s10
	s_cbranch_execnz .LBB0_528
.LBB0_529:
	s_wait_alu 0xfffe
	s_or_b32 exec_lo, exec_lo, s9
	v_mov_b32_e32 v6, 0
	s_mov_b32 s10, exec_lo
	s_mov_b32 s9, exec_lo
	s_wait_alu 0xfffe
	v_mbcnt_lo_u32_b32 v5, s10, 0
	global_load_b64 v[3:4], v6, s[4:5] offset:16
	v_cmpx_eq_u32_e32 0, v5
	s_cbranch_execz .LBB0_531
; %bb.530:
	s_bcnt1_i32_b32 s10, s10
	s_wait_alu 0xfffe
	v_mov_b32_e32 v5, s10
	global_wb scope:SCOPE_SYS
	s_wait_loadcnt 0x0
	s_wait_storecnt 0x0
	global_atomic_add_u64 v[3:4], v[5:6], off offset:8 scope:SCOPE_SYS
.LBB0_531:
	s_or_b32 exec_lo, exec_lo, s9
	s_wait_loadcnt 0x0
	global_load_b64 v[5:6], v[3:4], off offset:16
	s_wait_loadcnt 0x0
	v_cmp_eq_u64_e32 vcc_lo, 0, v[5:6]
	s_cbranch_vccnz .LBB0_533
; %bb.532:
	global_load_b32 v3, v[3:4], off offset:24
	v_mov_b32_e32 v4, 0
	s_wait_loadcnt 0x0
	v_readfirstlane_b32 s9, v3
	global_wb scope:SCOPE_SYS
	s_wait_storecnt 0x0
	global_store_b64 v[5:6], v[3:4], off scope:SCOPE_SYS
	s_and_b32 m0, s9, 0xffffff
	s_sendmsg sendmsg(MSG_INTERRUPT)
.LBB0_533:
	s_wait_alu 0xfffe
	s_or_b32 exec_lo, exec_lo, s8
	s_branch .LBB0_537
.LBB0_534:                              ;   in Loop: Header=BB0_537 Depth=1
	s_wait_alu 0xfffe
	s_or_b32 exec_lo, exec_lo, s8
	s_delay_alu instid0(VALU_DEP_1)
	v_readfirstlane_b32 s8, v3
	s_cmp_eq_u32 s8, 0
	s_cbranch_scc1 .LBB0_536
; %bb.535:                              ;   in Loop: Header=BB0_537 Depth=1
	s_sleep 1
	s_cbranch_execnz .LBB0_537
	s_branch .LBB0_539
.LBB0_536:
	s_branch .LBB0_539
.LBB0_537:                              ; =>This Inner Loop Header: Depth=1
	v_mov_b32_e32 v3, 1
	s_and_saveexec_b32 s8, s3
	s_cbranch_execz .LBB0_534
; %bb.538:                              ;   in Loop: Header=BB0_537 Depth=1
	global_load_b32 v3, v[0:1], off offset:20 scope:SCOPE_SYS
	s_wait_loadcnt 0x0
	global_inv scope:SCOPE_SYS
	v_and_b32_e32 v3, 1, v3
	s_branch .LBB0_534
.LBB0_539:
	global_load_b64 v[3:4], v[11:12], off
	s_and_saveexec_b32 s8, s3
	s_cbranch_execz .LBB0_543
; %bb.540:
	v_mov_b32_e32 v9, 0
	s_clause 0x2
	global_load_b64 v[0:1], v9, s[4:5] offset:40
	global_load_b64 v[12:13], v9, s[4:5] offset:24 scope:SCOPE_SYS
	global_load_b64 v[5:6], v9, s[4:5]
	s_wait_loadcnt 0x2
	v_readfirstlane_b32 s10, v0
	v_readfirstlane_b32 s11, v1
	s_add_nc_u64 s[12:13], s[10:11], 1
	s_wait_alu 0xfffe
	s_add_nc_u64 s[6:7], s[12:13], s[6:7]
	s_wait_alu 0xfffe
	s_cmp_eq_u64 s[6:7], 0
	s_cselect_b32 s7, s13, s7
	s_cselect_b32 s6, s12, s6
	s_wait_alu 0xfffe
	v_mov_b32_e32 v11, s7
	s_and_b64 s[10:11], s[6:7], s[10:11]
	v_mov_b32_e32 v10, s6
	s_wait_alu 0xfffe
	s_mul_u64 s[10:11], s[10:11], 24
	s_wait_loadcnt 0x0
	s_wait_alu 0xfffe
	v_add_co_u32 v0, vcc_lo, v5, s10
	s_wait_alu 0xfffd
	v_add_co_ci_u32_e64 v1, null, s11, v6, vcc_lo
	global_store_b64 v[0:1], v[12:13], off
	global_wb scope:SCOPE_SYS
	s_wait_storecnt 0x0
	global_atomic_cmpswap_b64 v[7:8], v9, v[10:13], s[4:5] offset:24 th:TH_ATOMIC_RETURN scope:SCOPE_SYS
	s_wait_loadcnt 0x0
	v_cmp_ne_u64_e32 vcc_lo, v[7:8], v[12:13]
	s_and_b32 exec_lo, exec_lo, vcc_lo
	s_cbranch_execz .LBB0_543
; %bb.541:
	s_mov_b32 s3, 0
.LBB0_542:                              ; =>This Inner Loop Header: Depth=1
	v_dual_mov_b32 v5, s6 :: v_dual_mov_b32 v6, s7
	s_sleep 1
	global_store_b64 v[0:1], v[7:8], off
	global_wb scope:SCOPE_SYS
	s_wait_storecnt 0x0
	global_atomic_cmpswap_b64 v[5:6], v9, v[5:8], s[4:5] offset:24 th:TH_ATOMIC_RETURN scope:SCOPE_SYS
	s_wait_loadcnt 0x0
	v_cmp_eq_u64_e32 vcc_lo, v[5:6], v[7:8]
	v_dual_mov_b32 v8, v6 :: v_dual_mov_b32 v7, v5
	s_wait_alu 0xfffe
	s_or_b32 s3, vcc_lo, s3
	s_wait_alu 0xfffe
	s_and_not1_b32 exec_lo, exec_lo, s3
	s_cbranch_execnz .LBB0_542
.LBB0_543:
	s_wait_alu 0xfffe
	s_or_b32 exec_lo, exec_lo, s8
	v_readfirstlane_b32 s3, v35
	v_mov_b32_e32 v0, 0
	v_mov_b32_e32 v1, 0
	s_wait_alu 0xf1ff
	s_delay_alu instid0(VALU_DEP_3)
	v_cmp_eq_u32_e64 s3, s3, v35
	s_and_saveexec_b32 s6, s3
	s_cbranch_execz .LBB0_549
; %bb.544:
	v_mov_b32_e32 v5, 0
	s_mov_b32 s7, exec_lo
	global_load_b64 v[8:9], v5, s[4:5] offset:24 scope:SCOPE_SYS
	s_wait_loadcnt 0x0
	global_inv scope:SCOPE_SYS
	s_clause 0x1
	global_load_b64 v[0:1], v5, s[4:5] offset:40
	global_load_b64 v[6:7], v5, s[4:5]
	s_wait_loadcnt 0x1
	v_and_b32_e32 v1, v1, v9
	v_and_b32_e32 v0, v0, v8
	s_delay_alu instid0(VALU_DEP_2) | instskip(NEXT) | instid1(VALU_DEP_2)
	v_mul_lo_u32 v1, 24, v1
	v_mul_lo_u32 v10, 0, v0
	v_mul_hi_u32 v11, 24, v0
	v_mul_lo_u32 v0, 24, v0
	s_delay_alu instid0(VALU_DEP_3) | instskip(SKIP_1) | instid1(VALU_DEP_2)
	v_add_nc_u32_e32 v1, v1, v10
	s_wait_loadcnt 0x0
	v_add_co_u32 v0, vcc_lo, v6, v0
	s_delay_alu instid0(VALU_DEP_2) | instskip(SKIP_1) | instid1(VALU_DEP_1)
	v_add_nc_u32_e32 v1, v1, v11
	s_wait_alu 0xfffd
	v_add_co_ci_u32_e64 v1, null, v7, v1, vcc_lo
	global_load_b64 v[6:7], v[0:1], off scope:SCOPE_SYS
	s_wait_loadcnt 0x0
	global_atomic_cmpswap_b64 v[0:1], v5, v[6:9], s[4:5] offset:24 th:TH_ATOMIC_RETURN scope:SCOPE_SYS
	s_wait_loadcnt 0x0
	global_inv scope:SCOPE_SYS
	v_cmpx_ne_u64_e64 v[0:1], v[8:9]
	s_cbranch_execz .LBB0_548
; %bb.545:
	s_mov_b32 s8, 0
.LBB0_546:                              ; =>This Inner Loop Header: Depth=1
	s_sleep 1
	s_clause 0x1
	global_load_b64 v[6:7], v5, s[4:5] offset:40
	global_load_b64 v[10:11], v5, s[4:5]
	v_dual_mov_b32 v9, v1 :: v_dual_mov_b32 v8, v0
	s_wait_loadcnt 0x1
	s_delay_alu instid0(VALU_DEP_1) | instskip(NEXT) | instid1(VALU_DEP_2)
	v_and_b32_e32 v0, v6, v8
	v_and_b32_e32 v6, v7, v9
	s_wait_loadcnt 0x0
	s_delay_alu instid0(VALU_DEP_2) | instskip(NEXT) | instid1(VALU_DEP_1)
	v_mad_co_u64_u32 v[0:1], null, v0, 24, v[10:11]
	v_mad_co_u64_u32 v[6:7], null, v6, 24, v[1:2]
	s_delay_alu instid0(VALU_DEP_1)
	v_mov_b32_e32 v1, v6
	global_load_b64 v[6:7], v[0:1], off scope:SCOPE_SYS
	s_wait_loadcnt 0x0
	global_atomic_cmpswap_b64 v[0:1], v5, v[6:9], s[4:5] offset:24 th:TH_ATOMIC_RETURN scope:SCOPE_SYS
	s_wait_loadcnt 0x0
	global_inv scope:SCOPE_SYS
	v_cmp_eq_u64_e32 vcc_lo, v[0:1], v[8:9]
	s_wait_alu 0xfffe
	s_or_b32 s8, vcc_lo, s8
	s_wait_alu 0xfffe
	s_and_not1_b32 exec_lo, exec_lo, s8
	s_cbranch_execnz .LBB0_546
; %bb.547:
	s_or_b32 exec_lo, exec_lo, s8
.LBB0_548:
	s_wait_alu 0xfffe
	s_or_b32 exec_lo, exec_lo, s7
.LBB0_549:
	s_wait_alu 0xfffe
	s_or_b32 exec_lo, exec_lo, s6
	v_readfirstlane_b32 s6, v0
	v_mov_b32_e32 v6, 0
	v_readfirstlane_b32 s7, v1
	s_mov_b32 s8, exec_lo
	s_clause 0x1
	global_load_b64 v[11:12], v6, s[4:5] offset:40
	global_load_b128 v[7:10], v6, s[4:5]
	s_wait_loadcnt 0x1
	s_wait_alu 0xf1ff
	v_and_b32_e32 v12, s7, v12
	v_and_b32_e32 v11, s6, v11
	s_delay_alu instid0(VALU_DEP_2) | instskip(NEXT) | instid1(VALU_DEP_2)
	v_mul_lo_u32 v0, 24, v12
	v_mul_lo_u32 v1, 0, v11
	v_mul_hi_u32 v5, 24, v11
	v_mul_lo_u32 v13, 24, v11
	s_delay_alu instid0(VALU_DEP_3) | instskip(NEXT) | instid1(VALU_DEP_1)
	v_add_nc_u32_e32 v0, v0, v1
	v_add_nc_u32_e32 v1, v0, v5
	s_wait_loadcnt 0x0
	s_delay_alu instid0(VALU_DEP_3) | instskip(SKIP_1) | instid1(VALU_DEP_2)
	v_add_co_u32 v0, vcc_lo, v7, v13
	s_wait_alu 0xfffd
	v_add_co_ci_u32_e64 v1, null, v8, v1, vcc_lo
	s_and_saveexec_b32 s9, s3
	s_cbranch_execz .LBB0_551
; %bb.550:
	s_wait_alu 0xfffe
	v_dual_mov_b32 v5, s8 :: v_dual_mov_b32 v16, 1
	v_dual_mov_b32 v15, 2 :: v_dual_mov_b32 v14, v6
	s_delay_alu instid0(VALU_DEP_2)
	v_mov_b32_e32 v13, v5
	global_store_b128 v[0:1], v[13:16], off offset:8
.LBB0_551:
	s_wait_alu 0xfffe
	s_or_b32 exec_lo, exec_lo, s9
	v_lshlrev_b64_e32 v[11:12], 12, v[11:12]
	s_mov_b32 s8, 0
	v_cndmask_b32_e64 v5, -1, v34, s2
	s_wait_alu 0xfffe
	s_mov_b32 s11, s8
	s_mov_b32 s9, s8
	;; [unrolled: 1-line block ×3, first 2 shown]
	v_add_co_u32 v9, vcc_lo, v9, v11
	s_wait_alu 0xfffd
	v_add_co_ci_u32_e64 v11, null, v10, v12, vcc_lo
	v_and_or_b32 v3, 0xffffff1f, v3, 32
	s_delay_alu instid0(VALU_DEP_3) | instskip(SKIP_1) | instid1(VALU_DEP_4)
	v_add_co_u32 v10, vcc_lo, v9, v30
	v_readfirstlane_b32 s12, v9
	v_readfirstlane_b32 s13, v11
	s_wait_alu 0xfffe
	v_dual_mov_b32 v15, s11 :: v_dual_mov_b32 v14, s10
	s_wait_alu 0xfffd
	v_add_co_ci_u32_e64 v11, null, 0, v11, vcc_lo
	v_dual_mov_b32 v13, s9 :: v_dual_mov_b32 v12, s8
	s_clause 0x3
	global_store_b128 v30, v[3:6], s[12:13]
	global_store_b128 v30, v[12:15], s[12:13] offset:16
	global_store_b128 v30, v[12:15], s[12:13] offset:32
	;; [unrolled: 1-line block ×3, first 2 shown]
	s_and_saveexec_b32 s2, s3
	s_cbranch_execz .LBB0_559
; %bb.552:
	v_mov_b32_e32 v12, 0
	v_mov_b32_e32 v14, s7
	s_mov_b32 s8, exec_lo
	s_clause 0x1
	global_load_b64 v[15:16], v12, s[4:5] offset:32 scope:SCOPE_SYS
	global_load_b64 v[3:4], v12, s[4:5] offset:40
	s_wait_loadcnt 0x0
	v_dual_mov_b32 v13, s6 :: v_dual_and_b32 v4, s7, v4
	v_and_b32_e32 v3, s6, v3
	s_delay_alu instid0(VALU_DEP_2) | instskip(NEXT) | instid1(VALU_DEP_2)
	v_mul_lo_u32 v4, 24, v4
	v_mul_lo_u32 v6, 0, v3
	v_mul_hi_u32 v9, 24, v3
	v_mul_lo_u32 v3, 24, v3
	s_delay_alu instid0(VALU_DEP_3) | instskip(NEXT) | instid1(VALU_DEP_2)
	v_add_nc_u32_e32 v4, v4, v6
	v_add_co_u32 v3, vcc_lo, v7, v3
	s_delay_alu instid0(VALU_DEP_2) | instskip(SKIP_1) | instid1(VALU_DEP_1)
	v_add_nc_u32_e32 v4, v4, v9
	s_wait_alu 0xfffd
	v_add_co_ci_u32_e64 v4, null, v8, v4, vcc_lo
	global_store_b64 v[3:4], v[15:16], off
	global_wb scope:SCOPE_SYS
	s_wait_storecnt 0x0
	global_atomic_cmpswap_b64 v[8:9], v12, v[13:16], s[4:5] offset:32 th:TH_ATOMIC_RETURN scope:SCOPE_SYS
	s_wait_loadcnt 0x0
	v_cmpx_ne_u64_e64 v[8:9], v[15:16]
	s_cbranch_execz .LBB0_555
; %bb.553:
	s_mov_b32 s9, 0
.LBB0_554:                              ; =>This Inner Loop Header: Depth=1
	v_dual_mov_b32 v6, s6 :: v_dual_mov_b32 v7, s7
	s_sleep 1
	global_store_b64 v[3:4], v[8:9], off
	global_wb scope:SCOPE_SYS
	s_wait_storecnt 0x0
	global_atomic_cmpswap_b64 v[6:7], v12, v[6:9], s[4:5] offset:32 th:TH_ATOMIC_RETURN scope:SCOPE_SYS
	s_wait_loadcnt 0x0
	v_cmp_eq_u64_e32 vcc_lo, v[6:7], v[8:9]
	v_dual_mov_b32 v9, v7 :: v_dual_mov_b32 v8, v6
	s_wait_alu 0xfffe
	s_or_b32 s9, vcc_lo, s9
	s_wait_alu 0xfffe
	s_and_not1_b32 exec_lo, exec_lo, s9
	s_cbranch_execnz .LBB0_554
.LBB0_555:
	s_wait_alu 0xfffe
	s_or_b32 exec_lo, exec_lo, s8
	v_mov_b32_e32 v7, 0
	s_mov_b32 s9, exec_lo
	s_mov_b32 s8, exec_lo
	s_wait_alu 0xfffe
	v_mbcnt_lo_u32_b32 v6, s9, 0
	global_load_b64 v[3:4], v7, s[4:5] offset:16
	v_cmpx_eq_u32_e32 0, v6
	s_cbranch_execz .LBB0_557
; %bb.556:
	s_bcnt1_i32_b32 s9, s9
	s_wait_alu 0xfffe
	v_mov_b32_e32 v6, s9
	global_wb scope:SCOPE_SYS
	s_wait_loadcnt 0x0
	s_wait_storecnt 0x0
	global_atomic_add_u64 v[3:4], v[6:7], off offset:8 scope:SCOPE_SYS
.LBB0_557:
	s_or_b32 exec_lo, exec_lo, s8
	s_wait_loadcnt 0x0
	global_load_b64 v[6:7], v[3:4], off offset:16
	s_wait_loadcnt 0x0
	v_cmp_eq_u64_e32 vcc_lo, 0, v[6:7]
	s_cbranch_vccnz .LBB0_559
; %bb.558:
	global_load_b32 v3, v[3:4], off offset:24
	v_mov_b32_e32 v4, 0
	s_wait_loadcnt 0x0
	v_readfirstlane_b32 s8, v3
	global_wb scope:SCOPE_SYS
	s_wait_storecnt 0x0
	global_store_b64 v[6:7], v[3:4], off scope:SCOPE_SYS
	s_and_b32 m0, s8, 0xffffff
	s_sendmsg sendmsg(MSG_INTERRUPT)
.LBB0_559:
	s_wait_alu 0xfffe
	s_or_b32 exec_lo, exec_lo, s2
	s_branch .LBB0_563
.LBB0_560:                              ;   in Loop: Header=BB0_563 Depth=1
	s_wait_alu 0xfffe
	s_or_b32 exec_lo, exec_lo, s2
	s_delay_alu instid0(VALU_DEP_1)
	v_readfirstlane_b32 s2, v3
	s_cmp_eq_u32 s2, 0
	s_cbranch_scc1 .LBB0_562
; %bb.561:                              ;   in Loop: Header=BB0_563 Depth=1
	s_sleep 1
	s_cbranch_execnz .LBB0_563
	s_branch .LBB0_565
.LBB0_562:
	s_branch .LBB0_565
.LBB0_563:                              ; =>This Inner Loop Header: Depth=1
	v_mov_b32_e32 v3, 1
	s_and_saveexec_b32 s2, s3
	s_cbranch_execz .LBB0_560
; %bb.564:                              ;   in Loop: Header=BB0_563 Depth=1
	global_load_b32 v3, v[0:1], off offset:20 scope:SCOPE_SYS
	s_wait_loadcnt 0x0
	global_inv scope:SCOPE_SYS
	v_and_b32_e32 v3, 1, v3
	s_branch .LBB0_560
.LBB0_565:
	global_load_b64 v[0:1], v[10:11], off
	s_and_saveexec_b32 s8, s3
	s_cbranch_execz .LBB0_569
; %bb.566:
	v_mov_b32_e32 v10, 0
	s_clause 0x2
	global_load_b64 v[3:4], v10, s[4:5] offset:40
	global_load_b64 v[13:14], v10, s[4:5] offset:24 scope:SCOPE_SYS
	global_load_b64 v[6:7], v10, s[4:5]
	s_wait_loadcnt 0x2
	v_readfirstlane_b32 s10, v3
	v_readfirstlane_b32 s11, v4
	s_add_nc_u64 s[2:3], s[10:11], 1
	s_wait_alu 0xfffe
	s_add_nc_u64 s[6:7], s[2:3], s[6:7]
	s_wait_alu 0xfffe
	s_cmp_eq_u64 s[6:7], 0
	s_cselect_b32 s3, s3, s7
	s_cselect_b32 s2, s2, s6
	s_wait_alu 0xfffe
	v_mov_b32_e32 v12, s3
	s_and_b64 s[6:7], s[2:3], s[10:11]
	v_mov_b32_e32 v11, s2
	s_wait_alu 0xfffe
	s_mul_u64 s[6:7], s[6:7], 24
	s_wait_loadcnt 0x0
	s_wait_alu 0xfffe
	v_add_co_u32 v3, vcc_lo, v6, s6
	s_wait_alu 0xfffd
	v_add_co_ci_u32_e64 v4, null, s7, v7, vcc_lo
	global_store_b64 v[3:4], v[13:14], off
	global_wb scope:SCOPE_SYS
	s_wait_storecnt 0x0
	global_atomic_cmpswap_b64 v[8:9], v10, v[11:14], s[4:5] offset:24 th:TH_ATOMIC_RETURN scope:SCOPE_SYS
	s_wait_loadcnt 0x0
	v_cmp_ne_u64_e32 vcc_lo, v[8:9], v[13:14]
	s_and_b32 exec_lo, exec_lo, vcc_lo
	s_cbranch_execz .LBB0_569
; %bb.567:
	s_mov_b32 s6, 0
.LBB0_568:                              ; =>This Inner Loop Header: Depth=1
	v_dual_mov_b32 v6, s2 :: v_dual_mov_b32 v7, s3
	s_sleep 1
	global_store_b64 v[3:4], v[8:9], off
	global_wb scope:SCOPE_SYS
	s_wait_storecnt 0x0
	global_atomic_cmpswap_b64 v[6:7], v10, v[6:9], s[4:5] offset:24 th:TH_ATOMIC_RETURN scope:SCOPE_SYS
	s_wait_loadcnt 0x0
	v_cmp_eq_u64_e32 vcc_lo, v[6:7], v[8:9]
	v_dual_mov_b32 v9, v7 :: v_dual_mov_b32 v8, v6
	s_wait_alu 0xfffe
	s_or_b32 s6, vcc_lo, s6
	s_wait_alu 0xfffe
	s_and_not1_b32 exec_lo, exec_lo, s6
	s_cbranch_execnz .LBB0_568
.LBB0_569:
	s_wait_alu 0xfffe
	s_or_b32 exec_lo, exec_lo, s8
	v_readfirstlane_b32 s2, v35
	v_mov_b32_e32 v3, 0
	v_mov_b32_e32 v4, 0
	s_wait_alu 0xf1ff
	s_delay_alu instid0(VALU_DEP_3)
	v_cmp_eq_u32_e64 s2, s2, v35
	s_and_saveexec_b32 s3, s2
	s_cbranch_execz .LBB0_575
; %bb.570:
	v_mov_b32_e32 v6, 0
	s_mov_b32 s6, exec_lo
	global_load_b64 v[9:10], v6, s[4:5] offset:24 scope:SCOPE_SYS
	s_wait_loadcnt 0x0
	global_inv scope:SCOPE_SYS
	s_clause 0x1
	global_load_b64 v[3:4], v6, s[4:5] offset:40
	global_load_b64 v[7:8], v6, s[4:5]
	s_wait_loadcnt 0x1
	v_and_b32_e32 v4, v4, v10
	v_and_b32_e32 v3, v3, v9
	s_delay_alu instid0(VALU_DEP_2) | instskip(NEXT) | instid1(VALU_DEP_2)
	v_mul_lo_u32 v4, 24, v4
	v_mul_lo_u32 v11, 0, v3
	v_mul_hi_u32 v12, 24, v3
	v_mul_lo_u32 v3, 24, v3
	s_delay_alu instid0(VALU_DEP_3) | instskip(SKIP_1) | instid1(VALU_DEP_2)
	v_add_nc_u32_e32 v4, v4, v11
	s_wait_loadcnt 0x0
	v_add_co_u32 v3, vcc_lo, v7, v3
	s_delay_alu instid0(VALU_DEP_2) | instskip(SKIP_1) | instid1(VALU_DEP_1)
	v_add_nc_u32_e32 v4, v4, v12
	s_wait_alu 0xfffd
	v_add_co_ci_u32_e64 v4, null, v8, v4, vcc_lo
	global_load_b64 v[7:8], v[3:4], off scope:SCOPE_SYS
	s_wait_loadcnt 0x0
	global_atomic_cmpswap_b64 v[3:4], v6, v[7:10], s[4:5] offset:24 th:TH_ATOMIC_RETURN scope:SCOPE_SYS
	s_wait_loadcnt 0x0
	global_inv scope:SCOPE_SYS
	v_cmpx_ne_u64_e64 v[3:4], v[9:10]
	s_cbranch_execz .LBB0_574
; %bb.571:
	s_mov_b32 s7, 0
.LBB0_572:                              ; =>This Inner Loop Header: Depth=1
	s_sleep 1
	s_clause 0x1
	global_load_b64 v[7:8], v6, s[4:5] offset:40
	global_load_b64 v[11:12], v6, s[4:5]
	v_dual_mov_b32 v10, v4 :: v_dual_mov_b32 v9, v3
	s_wait_loadcnt 0x1
	s_delay_alu instid0(VALU_DEP_1) | instskip(NEXT) | instid1(VALU_DEP_2)
	v_and_b32_e32 v3, v7, v9
	v_and_b32_e32 v7, v8, v10
	s_wait_loadcnt 0x0
	s_delay_alu instid0(VALU_DEP_2) | instskip(NEXT) | instid1(VALU_DEP_1)
	v_mad_co_u64_u32 v[3:4], null, v3, 24, v[11:12]
	v_mad_co_u64_u32 v[7:8], null, v7, 24, v[4:5]
	s_delay_alu instid0(VALU_DEP_1)
	v_mov_b32_e32 v4, v7
	global_load_b64 v[7:8], v[3:4], off scope:SCOPE_SYS
	s_wait_loadcnt 0x0
	global_atomic_cmpswap_b64 v[3:4], v6, v[7:10], s[4:5] offset:24 th:TH_ATOMIC_RETURN scope:SCOPE_SYS
	s_wait_loadcnt 0x0
	global_inv scope:SCOPE_SYS
	v_cmp_eq_u64_e32 vcc_lo, v[3:4], v[9:10]
	s_wait_alu 0xfffe
	s_or_b32 s7, vcc_lo, s7
	s_wait_alu 0xfffe
	s_and_not1_b32 exec_lo, exec_lo, s7
	s_cbranch_execnz .LBB0_572
; %bb.573:
	s_or_b32 exec_lo, exec_lo, s7
.LBB0_574:
	s_wait_alu 0xfffe
	s_or_b32 exec_lo, exec_lo, s6
.LBB0_575:
	s_wait_alu 0xfffe
	s_or_b32 exec_lo, exec_lo, s3
	v_readfirstlane_b32 s7, v4
	v_mov_b32_e32 v11, 0
	v_readfirstlane_b32 s6, v3
	s_mov_b32 s3, exec_lo
	s_clause 0x1
	global_load_b64 v[12:13], v11, s[4:5] offset:40
	global_load_b128 v[6:9], v11, s[4:5]
	s_wait_loadcnt 0x1
	s_wait_alu 0xf1ff
	v_and_b32_e32 v4, s7, v13
	v_and_b32_e32 v3, s6, v12
	s_delay_alu instid0(VALU_DEP_2) | instskip(NEXT) | instid1(VALU_DEP_2)
	v_mul_lo_u32 v10, 24, v4
	v_mul_lo_u32 v12, 0, v3
	v_mul_hi_u32 v13, 24, v3
	v_mul_lo_u32 v14, 24, v3
	s_delay_alu instid0(VALU_DEP_3) | instskip(SKIP_1) | instid1(VALU_DEP_2)
	v_add_nc_u32_e32 v10, v10, v12
	s_wait_loadcnt 0x0
	v_add_co_u32 v14, vcc_lo, v6, v14
	s_delay_alu instid0(VALU_DEP_2) | instskip(SKIP_1) | instid1(VALU_DEP_1)
	v_add_nc_u32_e32 v10, v10, v13
	s_wait_alu 0xfffd
	v_add_co_ci_u32_e64 v15, null, v7, v10, vcc_lo
	s_and_saveexec_b32 s8, s2
	s_cbranch_execz .LBB0_577
; %bb.576:
	s_wait_alu 0xfffe
	v_dual_mov_b32 v10, s3 :: v_dual_mov_b32 v13, 1
	v_mov_b32_e32 v12, 2
	global_store_b128 v[14:15], v[10:13], off offset:8
.LBB0_577:
	s_wait_alu 0xfffe
	s_or_b32 exec_lo, exec_lo, s8
	v_lshlrev_b64_e32 v[10:11], 12, v[3:4]
	s_mov_b32 s8, 0
	v_and_or_b32 v0, 0xffffff1d, v0, 34
	s_wait_alu 0xfffe
	s_mov_b32 s9, s8
	s_mov_b32 s10, s8
	;; [unrolled: 1-line block ×3, first 2 shown]
	v_add_co_u32 v4, vcc_lo, v8, v10
	s_wait_alu 0xfffd
	v_add_co_ci_u32_e64 v8, null, v9, v11, vcc_lo
	v_mov_b32_e32 v3, v31
	s_delay_alu instid0(VALU_DEP_3) | instskip(NEXT) | instid1(VALU_DEP_3)
	v_readfirstlane_b32 s12, v4
	v_readfirstlane_b32 s13, v8
	s_wait_alu 0xfffe
	v_dual_mov_b32 v8, s8 :: v_dual_mov_b32 v9, s9
	v_dual_mov_b32 v10, s10 :: v_dual_mov_b32 v11, s11
	s_clause 0x3
	global_store_b128 v30, v[0:3], s[12:13]
	global_store_b128 v30, v[8:11], s[12:13] offset:16
	global_store_b128 v30, v[8:11], s[12:13] offset:32
	;; [unrolled: 1-line block ×3, first 2 shown]
	s_and_saveexec_b32 s3, s2
	s_cbranch_execz .LBB0_585
; %bb.578:
	v_mov_b32_e32 v3, 0
	v_mov_b32_e32 v9, s7
	s_mov_b32 s8, exec_lo
	s_clause 0x1
	global_load_b64 v[10:11], v3, s[4:5] offset:32 scope:SCOPE_SYS
	global_load_b64 v[0:1], v3, s[4:5] offset:40
	s_wait_loadcnt 0x0
	v_and_b32_e32 v1, s7, v1
	v_and_b32_e32 v0, s6, v0
	s_delay_alu instid0(VALU_DEP_2) | instskip(NEXT) | instid1(VALU_DEP_2)
	v_mul_lo_u32 v1, 24, v1
	v_mul_lo_u32 v4, 0, v0
	v_mul_hi_u32 v8, 24, v0
	v_mul_lo_u32 v0, 24, v0
	s_delay_alu instid0(VALU_DEP_3) | instskip(NEXT) | instid1(VALU_DEP_2)
	v_add_nc_u32_e32 v1, v1, v4
	v_add_co_u32 v0, vcc_lo, v6, v0
	s_delay_alu instid0(VALU_DEP_2) | instskip(SKIP_1) | instid1(VALU_DEP_1)
	v_dual_mov_b32 v8, s6 :: v_dual_add_nc_u32 v1, v1, v8
	s_wait_alu 0xfffd
	v_add_co_ci_u32_e64 v1, null, v7, v1, vcc_lo
	global_store_b64 v[0:1], v[10:11], off
	global_wb scope:SCOPE_SYS
	s_wait_storecnt 0x0
	global_atomic_cmpswap_b64 v[8:9], v3, v[8:11], s[4:5] offset:32 th:TH_ATOMIC_RETURN scope:SCOPE_SYS
	s_wait_loadcnt 0x0
	v_cmpx_ne_u64_e64 v[8:9], v[10:11]
	s_cbranch_execz .LBB0_581
; %bb.579:
	s_mov_b32 s9, 0
.LBB0_580:                              ; =>This Inner Loop Header: Depth=1
	v_dual_mov_b32 v6, s6 :: v_dual_mov_b32 v7, s7
	s_sleep 1
	global_store_b64 v[0:1], v[8:9], off
	global_wb scope:SCOPE_SYS
	s_wait_storecnt 0x0
	global_atomic_cmpswap_b64 v[6:7], v3, v[6:9], s[4:5] offset:32 th:TH_ATOMIC_RETURN scope:SCOPE_SYS
	s_wait_loadcnt 0x0
	v_cmp_eq_u64_e32 vcc_lo, v[6:7], v[8:9]
	v_dual_mov_b32 v9, v7 :: v_dual_mov_b32 v8, v6
	s_wait_alu 0xfffe
	s_or_b32 s9, vcc_lo, s9
	s_wait_alu 0xfffe
	s_and_not1_b32 exec_lo, exec_lo, s9
	s_cbranch_execnz .LBB0_580
.LBB0_581:
	s_wait_alu 0xfffe
	s_or_b32 exec_lo, exec_lo, s8
	v_mov_b32_e32 v4, 0
	s_mov_b32 s9, exec_lo
	s_mov_b32 s8, exec_lo
	s_wait_alu 0xfffe
	v_mbcnt_lo_u32_b32 v3, s9, 0
	global_load_b64 v[0:1], v4, s[4:5] offset:16
	v_cmpx_eq_u32_e32 0, v3
	s_cbranch_execz .LBB0_583
; %bb.582:
	s_bcnt1_i32_b32 s9, s9
	s_wait_alu 0xfffe
	v_mov_b32_e32 v3, s9
	global_wb scope:SCOPE_SYS
	s_wait_loadcnt 0x0
	s_wait_storecnt 0x0
	global_atomic_add_u64 v[0:1], v[3:4], off offset:8 scope:SCOPE_SYS
.LBB0_583:
	s_or_b32 exec_lo, exec_lo, s8
	s_wait_loadcnt 0x0
	global_load_b64 v[3:4], v[0:1], off offset:16
	s_wait_loadcnt 0x0
	v_cmp_eq_u64_e32 vcc_lo, 0, v[3:4]
	s_cbranch_vccnz .LBB0_585
; %bb.584:
	global_load_b32 v0, v[0:1], off offset:24
	v_mov_b32_e32 v1, 0
	s_wait_loadcnt 0x0
	v_readfirstlane_b32 s8, v0
	global_wb scope:SCOPE_SYS
	s_wait_storecnt 0x0
	global_store_b64 v[3:4], v[0:1], off scope:SCOPE_SYS
	s_and_b32 m0, s8, 0xffffff
	s_sendmsg sendmsg(MSG_INTERRUPT)
.LBB0_585:
	s_wait_alu 0xfffe
	s_or_b32 exec_lo, exec_lo, s3
	s_branch .LBB0_589
.LBB0_586:                              ;   in Loop: Header=BB0_589 Depth=1
	s_wait_alu 0xfffe
	s_or_b32 exec_lo, exec_lo, s3
	s_delay_alu instid0(VALU_DEP_1)
	v_readfirstlane_b32 s3, v0
	s_cmp_eq_u32 s3, 0
	s_cbranch_scc1 .LBB0_588
; %bb.587:                              ;   in Loop: Header=BB0_589 Depth=1
	s_sleep 1
	s_cbranch_execnz .LBB0_589
	s_branch .LBB0_591
.LBB0_588:
	s_branch .LBB0_591
.LBB0_589:                              ; =>This Inner Loop Header: Depth=1
	v_mov_b32_e32 v0, 1
	s_and_saveexec_b32 s3, s2
	s_cbranch_execz .LBB0_586
; %bb.590:                              ;   in Loop: Header=BB0_589 Depth=1
	global_load_b32 v0, v[14:15], off offset:20 scope:SCOPE_SYS
	s_wait_loadcnt 0x0
	global_inv scope:SCOPE_SYS
	v_and_b32_e32 v0, 1, v0
	s_branch .LBB0_586
.LBB0_591:
	s_and_saveexec_b32 s8, s2
	s_cbranch_execz .LBB0_595
; %bb.592:
	v_mov_b32_e32 v3, 0
	s_clause 0x2
	global_load_b64 v[0:1], v3, s[4:5] offset:40
	global_load_b64 v[10:11], v3, s[4:5] offset:24 scope:SCOPE_SYS
	global_load_b64 v[6:7], v3, s[4:5]
	s_wait_loadcnt 0x2
	v_readfirstlane_b32 s10, v0
	v_readfirstlane_b32 s11, v1
	s_add_nc_u64 s[2:3], s[10:11], 1
	s_wait_alu 0xfffe
	s_add_nc_u64 s[6:7], s[2:3], s[6:7]
	s_wait_alu 0xfffe
	s_cmp_eq_u64 s[6:7], 0
	s_cselect_b32 s3, s3, s7
	s_cselect_b32 s2, s2, s6
	s_wait_alu 0xfffe
	v_mov_b32_e32 v9, s3
	s_and_b64 s[6:7], s[2:3], s[10:11]
	v_mov_b32_e32 v8, s2
	s_wait_alu 0xfffe
	s_mul_u64 s[6:7], s[6:7], 24
	s_wait_loadcnt 0x0
	s_wait_alu 0xfffe
	v_add_co_u32 v0, vcc_lo, v6, s6
	s_wait_alu 0xfffd
	v_add_co_ci_u32_e64 v1, null, s7, v7, vcc_lo
	global_store_b64 v[0:1], v[10:11], off
	global_wb scope:SCOPE_SYS
	s_wait_storecnt 0x0
	global_atomic_cmpswap_b64 v[8:9], v3, v[8:11], s[4:5] offset:24 th:TH_ATOMIC_RETURN scope:SCOPE_SYS
	s_wait_loadcnt 0x0
	v_cmp_ne_u64_e32 vcc_lo, v[8:9], v[10:11]
	s_and_b32 exec_lo, exec_lo, vcc_lo
	s_cbranch_execz .LBB0_595
; %bb.593:
	s_mov_b32 s6, 0
.LBB0_594:                              ; =>This Inner Loop Header: Depth=1
	v_dual_mov_b32 v6, s2 :: v_dual_mov_b32 v7, s3
	s_sleep 1
	global_store_b64 v[0:1], v[8:9], off
	global_wb scope:SCOPE_SYS
	s_wait_storecnt 0x0
	global_atomic_cmpswap_b64 v[6:7], v3, v[6:9], s[4:5] offset:24 th:TH_ATOMIC_RETURN scope:SCOPE_SYS
	s_wait_loadcnt 0x0
	v_cmp_eq_u64_e32 vcc_lo, v[6:7], v[8:9]
	v_dual_mov_b32 v9, v7 :: v_dual_mov_b32 v8, v6
	s_wait_alu 0xfffe
	s_or_b32 s6, vcc_lo, s6
	s_wait_alu 0xfffe
	s_and_not1_b32 exec_lo, exec_lo, s6
	s_cbranch_execnz .LBB0_594
.LBB0_595:
	s_wait_alu 0xfffe
	s_or_b32 exec_lo, exec_lo, s8
	v_mul_lo_u32 v0, v29, s22
	s_load_b64 s[0:1], s[0:1], 0x8
	s_delay_alu instid0(VALU_DEP_1) | instskip(NEXT) | instid1(VALU_DEP_1)
	v_sub_nc_u32_e32 v0, v2, v0
	v_subrev_nc_u32_e32 v2, s22, v0
	v_cmp_le_u32_e32 vcc_lo, s22, v0
	s_wait_alu 0xfffd
	s_delay_alu instid0(VALU_DEP_2) | instskip(NEXT) | instid1(VALU_DEP_1)
	v_dual_cndmask_b32 v0, v0, v2 :: v_dual_add_nc_u32 v1, 1, v29
	v_cndmask_b32_e32 v3, v29, v1, vcc_lo
	v_mov_b32_e32 v1, 0
	s_delay_alu instid0(VALU_DEP_3) | instskip(NEXT) | instid1(VALU_DEP_3)
	v_cmp_le_u32_e32 vcc_lo, s22, v0
	v_add_nc_u32_e32 v2, 1, v3
	s_wait_alu 0xfffd
	s_delay_alu instid0(VALU_DEP_1) | instskip(NEXT) | instid1(VALU_DEP_1)
	v_cndmask_b32_e32 v0, v3, v2, vcc_lo
	v_lshlrev_b64_e32 v[0:1], 2, v[0:1]
	s_wait_kmcnt 0x0
	s_delay_alu instid0(VALU_DEP_1) | instskip(SKIP_1) | instid1(VALU_DEP_2)
	v_add_co_u32 v0, vcc_lo, s0, v0
	s_wait_alu 0xfffd
	v_add_co_ci_u32_e64 v1, null, s1, v1, vcc_lo
	global_store_b32 v[0:1], v5, off
.LBB0_596:
	s_wait_alu 0xfffe
	s_or_b32 exec_lo, exec_lo, s19
.LBB0_597:
	s_delay_alu instid0(SALU_CYCLE_1)
	s_and_b32 vcc_lo, exec_lo, s18
	s_wait_alu 0xfffe
	s_cbranch_vccnz .LBB0_599
; %bb.598:
	s_endpgm
.LBB0_599:
	s_trap 2
	; divergent unreachable
	s_endpgm
	.section	.rodata,"a",@progbits
	.p2align	6, 0x0
	.amdhsa_kernel _Z33kernel_cg_group_partition_dynamicjPibS_
		.amdhsa_group_segment_fixed_size 0
		.amdhsa_private_segment_fixed_size 0
		.amdhsa_kernarg_size 288
		.amdhsa_user_sgpr_count 2
		.amdhsa_user_sgpr_dispatch_ptr 0
		.amdhsa_user_sgpr_queue_ptr 0
		.amdhsa_user_sgpr_kernarg_segment_ptr 1
		.amdhsa_user_sgpr_dispatch_id 0
		.amdhsa_user_sgpr_private_segment_size 0
		.amdhsa_wavefront_size32 1
		.amdhsa_uses_dynamic_stack 0
		.amdhsa_enable_private_segment 0
		.amdhsa_system_sgpr_workgroup_id_x 1
		.amdhsa_system_sgpr_workgroup_id_y 0
		.amdhsa_system_sgpr_workgroup_id_z 0
		.amdhsa_system_sgpr_workgroup_info 0
		.amdhsa_system_vgpr_workitem_id 2
		.amdhsa_next_free_vgpr 39
		.amdhsa_next_free_sgpr 28
		.amdhsa_reserve_vcc 1
		.amdhsa_float_round_mode_32 0
		.amdhsa_float_round_mode_16_64 0
		.amdhsa_float_denorm_mode_32 3
		.amdhsa_float_denorm_mode_16_64 3
		.amdhsa_fp16_overflow 0
		.amdhsa_workgroup_processor_mode 1
		.amdhsa_memory_ordered 1
		.amdhsa_forward_progress 1
		.amdhsa_inst_pref_size 245
		.amdhsa_round_robin_scheduling 0
		.amdhsa_exception_fp_ieee_invalid_op 0
		.amdhsa_exception_fp_denorm_src 0
		.amdhsa_exception_fp_ieee_div_zero 0
		.amdhsa_exception_fp_ieee_overflow 0
		.amdhsa_exception_fp_ieee_underflow 0
		.amdhsa_exception_fp_ieee_inexact 0
		.amdhsa_exception_int_div_zero 0
	.end_amdhsa_kernel
	.text
.Lfunc_end0:
	.size	_Z33kernel_cg_group_partition_dynamicjPibS_, .Lfunc_end0-_Z33kernel_cg_group_partition_dynamicjPibS_
                                        ; -- End function
	.set _Z33kernel_cg_group_partition_dynamicjPibS_.num_vgpr, 39
	.set _Z33kernel_cg_group_partition_dynamicjPibS_.num_agpr, 0
	.set _Z33kernel_cg_group_partition_dynamicjPibS_.numbered_sgpr, 28
	.set _Z33kernel_cg_group_partition_dynamicjPibS_.num_named_barrier, 0
	.set _Z33kernel_cg_group_partition_dynamicjPibS_.private_seg_size, 0
	.set _Z33kernel_cg_group_partition_dynamicjPibS_.uses_vcc, 1
	.set _Z33kernel_cg_group_partition_dynamicjPibS_.uses_flat_scratch, 0
	.set _Z33kernel_cg_group_partition_dynamicjPibS_.has_dyn_sized_stack, 0
	.set _Z33kernel_cg_group_partition_dynamicjPibS_.has_recursion, 0
	.set _Z33kernel_cg_group_partition_dynamicjPibS_.has_indirect_call, 0
	.section	.AMDGPU.csdata,"",@progbits
; Kernel info:
; codeLenInByte = 31244
; TotalNumSgprs: 30
; NumVgprs: 39
; ScratchSize: 0
; MemoryBound: 0
; FloatMode: 240
; IeeeMode: 1
; LDSByteSize: 0 bytes/workgroup (compile time only)
; SGPRBlocks: 0
; VGPRBlocks: 4
; NumSGPRsForWavesPerEU: 30
; NumVGPRsForWavesPerEU: 39
; Occupancy: 16
; WaveLimiterHint : 1
; COMPUTE_PGM_RSRC2:SCRATCH_EN: 0
; COMPUTE_PGM_RSRC2:USER_SGPR: 2
; COMPUTE_PGM_RSRC2:TRAP_HANDLER: 0
; COMPUTE_PGM_RSRC2:TGID_X_EN: 1
; COMPUTE_PGM_RSRC2:TGID_Y_EN: 0
; COMPUTE_PGM_RSRC2:TGID_Z_EN: 0
; COMPUTE_PGM_RSRC2:TIDIG_COMP_CNT: 2
	.text
	.protected	_Z32kernel_cg_group_partition_nestedjjPibS_ ; -- Begin function _Z32kernel_cg_group_partition_nestedjjPibS_
	.globl	_Z32kernel_cg_group_partition_nestedjjPibS_
	.p2align	8
	.type	_Z32kernel_cg_group_partition_nestedjjPibS_,@function
_Z32kernel_cg_group_partition_nestedjjPibS_: ; @_Z32kernel_cg_group_partition_nestedjjPibS_
; %bb.0:
	s_load_b64 s[6:7], s[0:1], 0x0
	s_mov_b32 s3, 0
	s_wait_kmcnt 0x0
	s_cmp_eq_u32 s6, 0
	s_cselect_b32 s2, -1, 0
	s_delay_alu instid0(SALU_CYCLE_1)
	s_and_b32 vcc_lo, exec_lo, s2
	s_cbranch_vccnz .LBB1_277
; %bb.1:
	s_add_co_i32 s8, s6, -1
	s_delay_alu instid0(SALU_CYCLE_1) | instskip(NEXT) | instid1(SALU_CYCLE_1)
	s_and_b32 s2, s6, s8
	s_cmp_eq_u32 s2, 0
	s_cselect_b32 s2, -1, 0
	s_cmp_lt_u32 s6, 33
	s_cselect_b32 s3, -1, 0
	s_delay_alu instid0(SALU_CYCLE_1)
	s_and_b32 s3, s3, s2
	s_mov_b32 s2, -1
	s_and_b32 vcc_lo, exec_lo, s3
	s_mov_b32 s3, 0
	s_cbranch_vccz .LBB1_277
; %bb.2:
	s_cvt_f32_u32 s2, s6
	s_cmp_eq_u32 s7, 0
	s_cselect_b32 s18, -1, 0
	s_delay_alu instid0(SALU_CYCLE_1) | instskip(SKIP_1) | instid1(TRANS32_DEP_1)
	v_rcp_iflag_f32_e32 v1, s2
	s_cmp_lg_u32 s7, 0
	v_readfirstlane_b32 s2, v1
	s_cbranch_scc0 .LBB1_275
; %bb.3:
	s_add_co_i32 s4, s7, -1
	s_mov_b32 s18, -1
	s_and_b32 s4, s7, s4
	s_delay_alu instid0(SALU_CYCLE_1) | instskip(SKIP_3) | instid1(SALU_CYCLE_1)
	s_cmp_eq_u32 s4, 0
	s_cselect_b32 s4, -1, 0
	s_cmp_lt_u32 s7, 33
	s_cselect_b32 s5, -1, 0
	s_and_b32 s4, s5, s4
	s_delay_alu instid0(SALU_CYCLE_1)
	s_and_b32 vcc_lo, exec_lo, s4
	s_cbranch_vccz .LBB1_275
; %bb.4:
	s_load_b64 s[4:5], s[0:1], 0x2c
	s_mul_f32 s2, s2, 0x4f7ffffe
	s_sub_co_i32 s9, 0, s6
	s_mov_b32 s11, s3
	v_bfe_u32 v1, v0, 10, 10
	s_wait_alu 0xfffe
	s_cvt_u32_f32 s2, s2
	v_bfe_u32 v2, v0, 20, 10
	v_and_b32_e32 v0, 0x3ff, v0
	s_wait_alu 0xfffe
	s_mul_i32 s9, s9, s2
	s_delay_alu instid0(SALU_CYCLE_1) | instskip(NEXT) | instid1(SALU_CYCLE_1)
	s_mul_hi_u32 s9, s2, s9
	s_add_co_i32 s10, s2, s9
	s_wait_kmcnt 0x0
	s_lshr_b32 s12, s4, 16
	s_and_b32 s13, s4, 0xffff
	s_and_b32 s4, s5, 0xffff
	s_mul_i32 s5, s12, s13
	v_mad_u32_u24 v1, v2, s12, v1
	s_mul_i32 s14, s5, s4
	s_delay_alu instid0(SALU_CYCLE_1) | instskip(SKIP_4) | instid1(SALU_CYCLE_1)
	s_add_co_i32 s2, s8, s14
	s_wait_alu 0xfffe
	s_mul_u64 s[4:5], s[2:3], s[10:11]
	v_mad_co_u64_u32 v[0:1], null, v1, s13, v[0:1]
	s_mul_i32 s4, s5, s6
	s_sub_co_i32 s2, s2, s4
	s_add_co_i32 s4, s5, 1
	s_wait_alu 0xfffe
	s_sub_co_i32 s9, s2, s6
	s_cmp_ge_u32 s2, s6
	s_cselect_b32 s4, s4, s5
	s_cselect_b32 s2, s9, s2
	s_add_co_i32 s5, s4, 1
	s_wait_alu 0xfffe
	s_cmp_ge_u32 s2, s6
	s_cselect_b32 s2, s5, s4
	s_wait_alu 0xfffe
	s_mul_i32 s2, s2, s6
	s_wait_alu 0xfffe
	s_sub_co_i32 s4, s2, s6
	s_sub_co_i32 s2, s14, s2
	v_cmp_le_u32_e32 vcc_lo, s4, v0
	s_cmp_gt_u32 s6, s7
	s_wait_alu 0xfffe
	v_cndmask_b32_e64 v1, 0, s2, vcc_lo
	s_cselect_b32 s2, -1, 0
	s_min_u32 s4, s6, s7
	s_delay_alu instid0(VALU_DEP_1) | instskip(SKIP_1) | instid1(VALU_DEP_1)
	v_add_nc_u32_e32 v1, s6, v1
	s_wait_alu 0xfffe
	v_cndmask_b32_e64 v8, v1, s7, s2
	v_mad_co_u64_u32 v[1:2], null, v0, s10, 0
	s_add_co_i32 s2, s4, -1
	v_mov_b32_e32 v1, v0
	s_wait_alu 0xfffe
	v_and_b32_e32 v3, s2, v0
	s_mov_b32 s2, exec_lo
	v_cmpx_lt_u32_e32 1, v8
	s_cbranch_execz .LBB1_10
; %bb.5:
	s_clause 0x1
	s_load_b32 s5, s[0:1], 0x10
	s_load_b64 s[12:13], s[0:1], 0x18
	s_mov_b64 s[10:11], src_shared_base
	v_mov_b32_e32 v5, 0
	s_delay_alu instid0(VALU_DEP_1) | instskip(NEXT) | instid1(VALU_DEP_1)
	v_dual_mov_b32 v1, v0 :: v_dual_mov_b32 v4, v5
	v_lshlrev_b64_e32 v[11:12], 2, v[3:4]
	s_wait_kmcnt 0x0
	s_and_b32 s5, 1, s5
	s_cmp_lg_u32 0, -1
	s_cselect_b32 s9, 0, 0
	s_wait_alu 0xfffe
	s_cselect_b32 s10, s11, 0
	s_cmp_eq_u32 s5, 1
	s_wait_alu 0xfffe
	s_cselect_b32 s5, s13, s10
	s_cselect_b32 s9, s12, s9
	s_sub_co_i32 s4, 0, s4
	s_wait_alu 0xfffe
	v_and_b32_e32 v6, s4, v0
	s_mov_b32 s4, 0
	s_delay_alu instid0(VALU_DEP_1) | instskip(NEXT) | instid1(VALU_DEP_1)
	v_ashrrev_i32_e32 v7, 31, v6
	v_lshlrev_b64_e32 v[6:7], 2, v[6:7]
	s_delay_alu instid0(VALU_DEP_1) | instskip(SKIP_1) | instid1(VALU_DEP_2)
	v_add_co_u32 v9, vcc_lo, s9, v6
	s_wait_alu 0xfffd
	v_add_co_ci_u32_e64 v10, null, s5, v7, vcc_lo
	s_delay_alu instid0(VALU_DEP_2) | instskip(SKIP_1) | instid1(VALU_DEP_2)
	v_add_co_u32 v6, vcc_lo, v9, v11
	s_wait_alu 0xfffd
	v_add_co_ci_u32_e64 v7, null, v10, v12, vcc_lo
	s_branch .LBB1_7
.LBB1_6:                                ;   in Loop: Header=BB1_7 Depth=1
	s_wait_alu 0xfffe
	s_or_b32 exec_lo, exec_lo, s5
	v_cmp_gt_u32_e32 vcc_lo, 4, v8
	v_mov_b32_e32 v8, v11
	s_wait_loadcnt 0x0
	global_inv scope:SCOPE_DEV
	s_or_b32 s4, vcc_lo, s4
	s_wait_alu 0xfffe
	s_and_not1_b32 exec_lo, exec_lo, s4
	s_cbranch_execz .LBB1_9
.LBB1_7:                                ; =>This Inner Loop Header: Depth=1
	v_lshrrev_b32_e32 v11, 1, v8
	s_mov_b32 s5, exec_lo
	flat_store_b32 v[6:7], v1
	s_wait_storecnt_dscnt 0x0
	global_inv scope:SCOPE_DEV
	v_cmpx_lt_i32_e64 v3, v11
	s_cbranch_execz .LBB1_6
; %bb.8:                                ;   in Loop: Header=BB1_7 Depth=1
	v_add_nc_u32_e32 v4, v11, v3
	s_delay_alu instid0(VALU_DEP_1) | instskip(NEXT) | instid1(VALU_DEP_1)
	v_lshlrev_b64_e32 v[12:13], 2, v[4:5]
	v_add_co_u32 v12, vcc_lo, v9, v12
	s_wait_alu 0xfffd
	s_delay_alu instid0(VALU_DEP_2)
	v_add_co_ci_u32_e64 v13, null, v10, v13, vcc_lo
	flat_load_b32 v4, v[12:13]
	s_wait_loadcnt_dscnt 0x0
	v_add_nc_u32_e32 v1, v4, v1
	s_branch .LBB1_6
.LBB1_9:
	s_or_b32 exec_lo, exec_lo, s4
.LBB1_10:
	s_wait_alu 0xfffe
	s_or_b32 exec_lo, exec_lo, s2
	v_cmp_eq_u32_e32 vcc_lo, 0, v3
	s_add_nc_u64 s[4:5], s[0:1], 32
	s_mov_b32 s18, 0
	s_and_saveexec_b32 s19, vcc_lo
	s_cbranch_execz .LBB1_274
; %bb.11:
	s_cvt_f32_u32 s2, s7
	s_sub_co_i32 s9, 0, s7
	v_and_b32_e32 v4, s8, v0
	s_load_b64 s[0:1], s[0:1], 0x8
	v_rcp_iflag_f32_e32 v3, s2
	v_mbcnt_lo_u32_b32 v33, -1, 0
	s_delay_alu instid0(TRANS32_DEP_1) | instskip(SKIP_2) | instid1(VALU_DEP_1)
	v_readfirstlane_b32 s2, v3
	v_mul_lo_u32 v3, v2, s6
	s_mul_f32 s2, s2, 0x4f7ffffe
	v_sub_nc_u32_e32 v0, v0, v3
	s_wait_alu 0xfffe
	s_delay_alu instid0(SALU_CYCLE_1) | instskip(SKIP_2) | instid1(SALU_CYCLE_1)
	s_cvt_u32_f32 s2, s2
	v_add_nc_u32_e32 v3, 1, v2
	s_wait_alu 0xfffe
	s_mul_i32 s9, s9, s2
	v_subrev_nc_u32_e32 v6, s6, v0
	s_wait_alu 0xfffe
	s_mul_hi_u32 s8, s2, s9
	s_wait_alu 0xfffe
	s_add_co_i32 s8, s2, s8
	v_cmp_le_u32_e64 s2, s6, v0
	s_wait_alu 0xfffe
	v_mul_hi_u32 v5, v4, s8
	s_mul_hi_u32 s8, s6, s8
	s_wait_alu 0xfffe
	s_mul_i32 s9, s8, s7
	v_cndmask_b32_e64 v2, v2, v3, s2
	v_cndmask_b32_e64 v0, v0, v6, s2
	s_wait_alu 0xfffe
	s_sub_co_i32 s9, s6, s9
	s_add_co_i32 s10, s8, 1
	v_mul_lo_u32 v7, v5, s7
	v_add_nc_u32_e32 v3, 1, v2
	v_cmp_le_u32_e64 s2, s6, v0
	v_add_nc_u32_e32 v6, 1, v5
	s_wait_alu 0xfffe
	s_sub_co_i32 s11, s9, s7
	s_cmp_ge_u32 s9, s7
	v_cndmask_b32_e64 v34, v2, v3, s2
	v_sub_nc_u32_e32 v4, v4, v7
	s_cselect_b32 s8, s10, s8
	s_wait_alu 0xfffe
	s_cselect_b32 s9, s11, s9
	s_add_co_i32 s10, s8, 1
	s_wait_alu 0xfffe
	s_cmp_ge_u32 s9, s7
	v_subrev_nc_u32_e32 v0, s7, v4
	v_cmp_le_u32_e64 s2, s7, v4
	s_wait_alu 0xf1ff
	s_delay_alu instid0(VALU_DEP_1) | instskip(NEXT) | instid1(VALU_DEP_3)
	v_cndmask_b32_e64 v2, v5, v6, s2
	v_cndmask_b32_e64 v0, v4, v0, s2
	s_delay_alu instid0(VALU_DEP_2) | instskip(NEXT) | instid1(VALU_DEP_2)
	v_add_nc_u32_e32 v3, 1, v2
	v_cmp_le_u32_e64 s2, s7, v0
	s_wait_alu 0xf1ff
	s_delay_alu instid0(VALU_DEP_1) | instskip(SKIP_2) | instid1(VALU_DEP_1)
	v_cndmask_b32_e64 v5, v2, v3, s2
	s_cselect_b32 s2, s10, s8
	s_wait_alu 0xfffe
	v_mad_co_u64_u32 v[2:3], null, s2, v34, v[5:6]
	s_delay_alu instid0(VALU_DEP_1) | instskip(NEXT) | instid1(VALU_DEP_1)
	v_ashrrev_i32_e32 v3, 31, v2
	v_lshlrev_b64_e32 v[3:4], 2, v[2:3]
	v_cndmask_b32_e32 v2, -1, v1, vcc_lo
	s_wait_kmcnt 0x0
	s_delay_alu instid0(VALU_DEP_2) | instskip(SKIP_1) | instid1(VALU_DEP_3)
	v_add_co_u32 v0, vcc_lo, s0, v3
	s_wait_alu 0xfffd
	v_add_co_ci_u32_e64 v1, null, s1, v4, vcc_lo
	v_readfirstlane_b32 s0, v33
	global_store_b32 v[0:1], v2, off
	s_load_b64 s[4:5], s[4:5], 0x50
	v_mov_b32_e32 v0, 0
	v_mov_b32_e32 v1, 0
	v_cmp_eq_u32_e64 s0, s0, v33
	s_and_saveexec_b32 s1, s0
	s_cbranch_execz .LBB1_17
; %bb.12:
	v_mov_b32_e32 v3, 0
	s_mov_b32 s2, exec_lo
	s_wait_kmcnt 0x0
	global_load_b64 v[8:9], v3, s[4:5] offset:24 scope:SCOPE_SYS
	s_wait_loadcnt 0x0
	global_inv scope:SCOPE_SYS
	s_clause 0x1
	global_load_b64 v[0:1], v3, s[4:5] offset:40
	global_load_b64 v[6:7], v3, s[4:5]
	s_wait_loadcnt 0x1
	v_and_b32_e32 v1, v1, v9
	v_and_b32_e32 v0, v0, v8
	s_delay_alu instid0(VALU_DEP_2) | instskip(NEXT) | instid1(VALU_DEP_2)
	v_mul_lo_u32 v1, 24, v1
	v_mul_lo_u32 v4, 0, v0
	v_mul_hi_u32 v10, 24, v0
	v_mul_lo_u32 v0, 24, v0
	s_delay_alu instid0(VALU_DEP_3) | instskip(SKIP_1) | instid1(VALU_DEP_2)
	v_add_nc_u32_e32 v1, v1, v4
	s_wait_loadcnt 0x0
	v_add_co_u32 v0, vcc_lo, v6, v0
	s_delay_alu instid0(VALU_DEP_2) | instskip(SKIP_1) | instid1(VALU_DEP_1)
	v_add_nc_u32_e32 v1, v1, v10
	s_wait_alu 0xfffd
	v_add_co_ci_u32_e64 v1, null, v7, v1, vcc_lo
	global_load_b64 v[6:7], v[0:1], off scope:SCOPE_SYS
	s_wait_loadcnt 0x0
	global_atomic_cmpswap_b64 v[0:1], v3, v[6:9], s[4:5] offset:24 th:TH_ATOMIC_RETURN scope:SCOPE_SYS
	s_wait_loadcnt 0x0
	global_inv scope:SCOPE_SYS
	v_cmpx_ne_u64_e64 v[0:1], v[8:9]
	s_cbranch_execz .LBB1_16
; %bb.13:
	s_mov_b32 s8, 0
.LBB1_14:                               ; =>This Inner Loop Header: Depth=1
	s_sleep 1
	s_clause 0x1
	global_load_b64 v[6:7], v3, s[4:5] offset:40
	global_load_b64 v[10:11], v3, s[4:5]
	v_dual_mov_b32 v9, v1 :: v_dual_mov_b32 v8, v0
	s_wait_loadcnt 0x1
	s_delay_alu instid0(VALU_DEP_1) | instskip(NEXT) | instid1(VALU_DEP_2)
	v_and_b32_e32 v0, v6, v8
	v_and_b32_e32 v4, v7, v9
	s_wait_loadcnt 0x0
	s_delay_alu instid0(VALU_DEP_2) | instskip(NEXT) | instid1(VALU_DEP_1)
	v_mad_co_u64_u32 v[0:1], null, v0, 24, v[10:11]
	v_mad_co_u64_u32 v[6:7], null, v4, 24, v[1:2]
	s_delay_alu instid0(VALU_DEP_1)
	v_mov_b32_e32 v1, v6
	global_load_b64 v[6:7], v[0:1], off scope:SCOPE_SYS
	s_wait_loadcnt 0x0
	global_atomic_cmpswap_b64 v[0:1], v3, v[6:9], s[4:5] offset:24 th:TH_ATOMIC_RETURN scope:SCOPE_SYS
	s_wait_loadcnt 0x0
	global_inv scope:SCOPE_SYS
	v_cmp_eq_u64_e32 vcc_lo, v[0:1], v[8:9]
	s_wait_alu 0xfffe
	s_or_b32 s8, vcc_lo, s8
	s_wait_alu 0xfffe
	s_and_not1_b32 exec_lo, exec_lo, s8
	s_cbranch_execnz .LBB1_14
; %bb.15:
	s_or_b32 exec_lo, exec_lo, s8
.LBB1_16:
	s_wait_alu 0xfffe
	s_or_b32 exec_lo, exec_lo, s2
.LBB1_17:
	s_wait_alu 0xfffe
	s_or_b32 exec_lo, exec_lo, s1
	v_readfirstlane_b32 s9, v1
	v_mov_b32_e32 v11, 0
	v_readfirstlane_b32 s8, v0
	s_mov_b32 s1, exec_lo
	s_wait_kmcnt 0x0
	s_clause 0x1
	global_load_b64 v[3:4], v11, s[4:5] offset:40
	global_load_b128 v[6:9], v11, s[4:5]
	s_wait_loadcnt 0x1
	s_wait_alu 0xf1ff
	v_and_b32_e32 v4, s9, v4
	v_and_b32_e32 v3, s8, v3
	s_delay_alu instid0(VALU_DEP_2) | instskip(NEXT) | instid1(VALU_DEP_2)
	v_mul_lo_u32 v0, 24, v4
	v_mul_lo_u32 v1, 0, v3
	v_mul_hi_u32 v10, 24, v3
	v_mul_lo_u32 v12, 24, v3
	s_delay_alu instid0(VALU_DEP_3) | instskip(NEXT) | instid1(VALU_DEP_1)
	v_add_nc_u32_e32 v0, v0, v1
	v_add_nc_u32_e32 v1, v0, v10
	s_wait_loadcnt 0x0
	s_delay_alu instid0(VALU_DEP_3) | instskip(SKIP_1) | instid1(VALU_DEP_2)
	v_add_co_u32 v0, vcc_lo, v6, v12
	s_wait_alu 0xfffd
	v_add_co_ci_u32_e64 v1, null, v7, v1, vcc_lo
	s_and_saveexec_b32 s2, s0
	s_cbranch_execz .LBB1_19
; %bb.18:
	s_wait_alu 0xfffe
	v_dual_mov_b32 v10, s1 :: v_dual_mov_b32 v13, 1
	v_mov_b32_e32 v12, 2
	global_store_b128 v[0:1], v[10:13], off offset:8
.LBB1_19:
	s_wait_alu 0xfffe
	s_or_b32 exec_lo, exec_lo, s2
	v_lshlrev_b64_e32 v[3:4], 12, v[3:4]
	v_dual_mov_b32 v13, v11 :: v_dual_lshlrev_b32 v32, 6, v33
	s_mov_b32 s12, 0
	s_wait_alu 0xfffe
	s_mov_b32 s15, s12
	s_delay_alu instid0(VALU_DEP_2)
	v_add_co_u32 v3, vcc_lo, v8, v3
	s_wait_alu 0xfffd
	v_add_co_ci_u32_e64 v4, null, v9, v4, vcc_lo
	s_mov_b32 s13, s12
	v_readfirstlane_b32 s10, v3
	v_add_co_u32 v3, vcc_lo, v3, v32
	s_mov_b32 s14, s12
	v_dual_mov_b32 v10, 33 :: v_dual_mov_b32 v17, s15
	s_wait_alu 0xfffe
	v_dual_mov_b32 v12, v11 :: v_dual_mov_b32 v15, s13
	v_readfirstlane_b32 s11, v4
	s_wait_alu 0xfffd
	v_add_co_ci_u32_e64 v4, null, 0, v4, vcc_lo
	v_mov_b32_e32 v16, s14
	v_mov_b32_e32 v14, s12
	s_clause 0x3
	global_store_b128 v32, v[10:13], s[10:11]
	global_store_b128 v32, v[14:17], s[10:11] offset:16
	global_store_b128 v32, v[14:17], s[10:11] offset:32
	;; [unrolled: 1-line block ×3, first 2 shown]
	s_and_saveexec_b32 s1, s0
	s_cbranch_execz .LBB1_27
; %bb.20:
	v_mov_b32_e32 v12, 0
	s_mov_b32 s2, exec_lo
	s_clause 0x1
	global_load_b64 v[15:16], v12, s[4:5] offset:32 scope:SCOPE_SYS
	global_load_b64 v[8:9], v12, s[4:5] offset:40
	v_dual_mov_b32 v13, s8 :: v_dual_mov_b32 v14, s9
	s_wait_loadcnt 0x0
	v_and_b32_e32 v9, s9, v9
	v_and_b32_e32 v8, s8, v8
	s_delay_alu instid0(VALU_DEP_2) | instskip(NEXT) | instid1(VALU_DEP_2)
	v_mul_lo_u32 v9, 24, v9
	v_mul_lo_u32 v10, 0, v8
	v_mul_hi_u32 v11, 24, v8
	v_mul_lo_u32 v8, 24, v8
	s_delay_alu instid0(VALU_DEP_3) | instskip(NEXT) | instid1(VALU_DEP_2)
	v_add_nc_u32_e32 v9, v9, v10
	v_add_co_u32 v10, vcc_lo, v6, v8
	s_delay_alu instid0(VALU_DEP_2) | instskip(SKIP_1) | instid1(VALU_DEP_1)
	v_add_nc_u32_e32 v9, v9, v11
	s_wait_alu 0xfffd
	v_add_co_ci_u32_e64 v11, null, v7, v9, vcc_lo
	global_store_b64 v[10:11], v[15:16], off
	global_wb scope:SCOPE_SYS
	s_wait_storecnt 0x0
	global_atomic_cmpswap_b64 v[8:9], v12, v[13:16], s[4:5] offset:32 th:TH_ATOMIC_RETURN scope:SCOPE_SYS
	s_wait_loadcnt 0x0
	v_cmpx_ne_u64_e64 v[8:9], v[15:16]
	s_cbranch_execz .LBB1_23
; %bb.21:
	s_mov_b32 s10, 0
.LBB1_22:                               ; =>This Inner Loop Header: Depth=1
	v_dual_mov_b32 v6, s8 :: v_dual_mov_b32 v7, s9
	s_sleep 1
	global_store_b64 v[10:11], v[8:9], off
	global_wb scope:SCOPE_SYS
	s_wait_storecnt 0x0
	global_atomic_cmpswap_b64 v[6:7], v12, v[6:9], s[4:5] offset:32 th:TH_ATOMIC_RETURN scope:SCOPE_SYS
	s_wait_loadcnt 0x0
	v_cmp_eq_u64_e32 vcc_lo, v[6:7], v[8:9]
	v_dual_mov_b32 v9, v7 :: v_dual_mov_b32 v8, v6
	s_wait_alu 0xfffe
	s_or_b32 s10, vcc_lo, s10
	s_wait_alu 0xfffe
	s_and_not1_b32 exec_lo, exec_lo, s10
	s_cbranch_execnz .LBB1_22
.LBB1_23:
	s_wait_alu 0xfffe
	s_or_b32 exec_lo, exec_lo, s2
	v_mov_b32_e32 v9, 0
	s_mov_b32 s10, exec_lo
	s_mov_b32 s2, exec_lo
	s_wait_alu 0xfffe
	v_mbcnt_lo_u32_b32 v8, s10, 0
	global_load_b64 v[6:7], v9, s[4:5] offset:16
	v_cmpx_eq_u32_e32 0, v8
	s_cbranch_execz .LBB1_25
; %bb.24:
	s_bcnt1_i32_b32 s10, s10
	s_wait_alu 0xfffe
	v_mov_b32_e32 v8, s10
	global_wb scope:SCOPE_SYS
	s_wait_loadcnt 0x0
	s_wait_storecnt 0x0
	global_atomic_add_u64 v[6:7], v[8:9], off offset:8 scope:SCOPE_SYS
.LBB1_25:
	s_or_b32 exec_lo, exec_lo, s2
	s_wait_loadcnt 0x0
	global_load_b64 v[8:9], v[6:7], off offset:16
	s_wait_loadcnt 0x0
	v_cmp_eq_u64_e32 vcc_lo, 0, v[8:9]
	s_cbranch_vccnz .LBB1_27
; %bb.26:
	global_load_b32 v6, v[6:7], off offset:24
	v_mov_b32_e32 v7, 0
	s_wait_loadcnt 0x0
	v_readfirstlane_b32 s2, v6
	global_wb scope:SCOPE_SYS
	s_wait_storecnt 0x0
	global_store_b64 v[8:9], v[6:7], off scope:SCOPE_SYS
	s_and_b32 m0, s2, 0xffffff
	s_sendmsg sendmsg(MSG_INTERRUPT)
.LBB1_27:
	s_wait_alu 0xfffe
	s_or_b32 exec_lo, exec_lo, s1
	s_branch .LBB1_31
.LBB1_28:                               ;   in Loop: Header=BB1_31 Depth=1
	s_wait_alu 0xfffe
	s_or_b32 exec_lo, exec_lo, s1
	s_delay_alu instid0(VALU_DEP_1)
	v_readfirstlane_b32 s1, v6
	s_cmp_eq_u32 s1, 0
	s_cbranch_scc1 .LBB1_30
; %bb.29:                               ;   in Loop: Header=BB1_31 Depth=1
	s_sleep 1
	s_cbranch_execnz .LBB1_31
	s_branch .LBB1_33
.LBB1_30:
	s_branch .LBB1_33
.LBB1_31:                               ; =>This Inner Loop Header: Depth=1
	v_mov_b32_e32 v6, 1
	s_and_saveexec_b32 s1, s0
	s_cbranch_execz .LBB1_28
; %bb.32:                               ;   in Loop: Header=BB1_31 Depth=1
	global_load_b32 v6, v[0:1], off offset:20 scope:SCOPE_SYS
	s_wait_loadcnt 0x0
	global_inv scope:SCOPE_SYS
	v_and_b32_e32 v6, 1, v6
	s_branch .LBB1_28
.LBB1_33:
	global_load_b64 v[6:7], v[3:4], off
	s_and_saveexec_b32 s2, s0
	s_cbranch_execz .LBB1_37
; %bb.34:
	v_mov_b32_e32 v3, 0
	s_clause 0x2
	global_load_b64 v[0:1], v3, s[4:5] offset:40
	global_load_b64 v[12:13], v3, s[4:5] offset:24 scope:SCOPE_SYS
	global_load_b64 v[8:9], v3, s[4:5]
	s_wait_loadcnt 0x2
	v_readfirstlane_b32 s10, v0
	v_readfirstlane_b32 s11, v1
	s_add_nc_u64 s[0:1], s[10:11], 1
	s_wait_alu 0xfffe
	s_add_nc_u64 s[8:9], s[0:1], s[8:9]
	s_wait_alu 0xfffe
	s_cmp_eq_u64 s[8:9], 0
	s_cselect_b32 s1, s1, s9
	s_cselect_b32 s0, s0, s8
	s_wait_alu 0xfffe
	v_mov_b32_e32 v11, s1
	s_and_b64 s[8:9], s[0:1], s[10:11]
	v_mov_b32_e32 v10, s0
	s_wait_alu 0xfffe
	s_mul_u64 s[8:9], s[8:9], 24
	s_wait_loadcnt 0x0
	s_wait_alu 0xfffe
	v_add_co_u32 v0, vcc_lo, v8, s8
	s_wait_alu 0xfffd
	v_add_co_ci_u32_e64 v1, null, s9, v9, vcc_lo
	global_store_b64 v[0:1], v[12:13], off
	global_wb scope:SCOPE_SYS
	s_wait_storecnt 0x0
	global_atomic_cmpswap_b64 v[10:11], v3, v[10:13], s[4:5] offset:24 th:TH_ATOMIC_RETURN scope:SCOPE_SYS
	s_wait_loadcnt 0x0
	v_cmp_ne_u64_e32 vcc_lo, v[10:11], v[12:13]
	s_and_b32 exec_lo, exec_lo, vcc_lo
	s_cbranch_execz .LBB1_37
; %bb.35:
	s_mov_b32 s8, 0
.LBB1_36:                               ; =>This Inner Loop Header: Depth=1
	v_dual_mov_b32 v8, s0 :: v_dual_mov_b32 v9, s1
	s_sleep 1
	global_store_b64 v[0:1], v[10:11], off
	global_wb scope:SCOPE_SYS
	s_wait_storecnt 0x0
	global_atomic_cmpswap_b64 v[8:9], v3, v[8:11], s[4:5] offset:24 th:TH_ATOMIC_RETURN scope:SCOPE_SYS
	s_wait_loadcnt 0x0
	v_cmp_eq_u64_e32 vcc_lo, v[8:9], v[10:11]
	v_dual_mov_b32 v11, v9 :: v_dual_mov_b32 v10, v8
	s_wait_alu 0xfffe
	s_or_b32 s8, vcc_lo, s8
	s_wait_alu 0xfffe
	s_and_not1_b32 exec_lo, exec_lo, s8
	s_cbranch_execnz .LBB1_36
.LBB1_37:
	s_wait_alu 0xfffe
	s_or_b32 exec_lo, exec_lo, s2
	s_getpc_b64 s[8:9]
	s_wait_alu 0xfffe
	s_sext_i32_i16 s9, s9
	s_add_co_u32 s8, s8, .str.3@rel32@lo+12
	s_wait_alu 0xfffe
	s_add_co_ci_u32 s9, s9, .str.3@rel32@hi+24
	s_wait_alu 0xfffe
	s_cmp_lg_u64 s[8:9], 0
	s_cbranch_scc0 .LBB1_116
; %bb.38:
	s_wait_loadcnt 0x0
	v_dual_mov_b32 v14, 2 :: v_dual_and_b32 v35, 2, v6
	v_dual_mov_b32 v13, 0 :: v_dual_and_b32 v8, -3, v6
	v_mov_b32_e32 v9, v7
	v_mov_b32_e32 v15, 1
	s_mov_b64 s[10:11], 0x43
	s_branch .LBB1_40
.LBB1_39:                               ;   in Loop: Header=BB1_40 Depth=1
	s_wait_alu 0xfffe
	s_or_b32 exec_lo, exec_lo, s2
	s_sub_nc_u64 s[10:11], s[10:11], s[12:13]
	s_add_nc_u64 s[8:9], s[8:9], s[12:13]
	s_wait_alu 0xfffe
	s_cmp_lg_u64 s[10:11], 0
	s_cbranch_scc0 .LBB1_115
.LBB1_40:                               ; =>This Loop Header: Depth=1
                                        ;     Child Loop BB1_43 Depth 2
                                        ;     Child Loop BB1_50 Depth 2
	;; [unrolled: 1-line block ×11, first 2 shown]
	s_wait_alu 0xfffe
	v_cmp_lt_u64_e64 s0, s[10:11], 56
	v_cmp_gt_u64_e64 s1, s[10:11], 7
	s_and_b32 s0, s0, exec_lo
	s_cselect_b32 s13, s11, 0
	s_cselect_b32 s12, s10, 56
	s_and_b32 vcc_lo, exec_lo, s1
	s_wait_alu 0xfffe
	s_cbranch_vccnz .LBB1_45
; %bb.41:                               ;   in Loop: Header=BB1_40 Depth=1
	v_mov_b32_e32 v10, 0
	v_mov_b32_e32 v11, 0
	s_cmp_eq_u64 s[10:11], 0
	s_cbranch_scc1 .LBB1_44
; %bb.42:                               ;   in Loop: Header=BB1_40 Depth=1
	s_mov_b64 s[0:1], 0
	s_mov_b64 s[14:15], 0
.LBB1_43:                               ;   Parent Loop BB1_40 Depth=1
                                        ; =>  This Inner Loop Header: Depth=2
	s_wait_alu 0xfffe
	s_add_nc_u64 s[16:17], s[8:9], s[14:15]
	s_add_nc_u64 s[14:15], s[14:15], 1
	global_load_u8 v0, v13, s[16:17]
	s_wait_alu 0xfffe
	s_cmp_lg_u32 s12, s14
	s_wait_loadcnt 0x0
	v_and_b32_e32 v12, 0xffff, v0
	s_delay_alu instid0(VALU_DEP_1) | instskip(SKIP_1) | instid1(VALU_DEP_1)
	v_lshlrev_b64_e32 v[0:1], s0, v[12:13]
	s_add_nc_u64 s[0:1], s[0:1], 8
	v_or_b32_e32 v10, v0, v10
	s_delay_alu instid0(VALU_DEP_2)
	v_or_b32_e32 v11, v1, v11
	s_cbranch_scc1 .LBB1_43
.LBB1_44:                               ;   in Loop: Header=BB1_40 Depth=1
	s_mov_b64 s[14:15], s[8:9]
	s_mov_b32 s2, 0
	s_cbranch_execz .LBB1_46
	s_branch .LBB1_47
.LBB1_45:                               ;   in Loop: Header=BB1_40 Depth=1
	s_add_nc_u64 s[14:15], s[8:9], 8
	s_mov_b32 s2, 0
.LBB1_46:                               ;   in Loop: Header=BB1_40 Depth=1
	global_load_b64 v[10:11], v13, s[8:9]
	s_add_co_i32 s2, s12, -8
.LBB1_47:                               ;   in Loop: Header=BB1_40 Depth=1
	s_wait_alu 0xfffe
	s_cmp_gt_u32 s2, 7
	s_cbranch_scc1 .LBB1_52
; %bb.48:                               ;   in Loop: Header=BB1_40 Depth=1
	v_mov_b32_e32 v16, 0
	v_mov_b32_e32 v17, 0
	s_cmp_eq_u32 s2, 0
	s_cbranch_scc1 .LBB1_51
; %bb.49:                               ;   in Loop: Header=BB1_40 Depth=1
	s_mov_b64 s[0:1], 0
	s_mov_b64 s[16:17], 0
.LBB1_50:                               ;   Parent Loop BB1_40 Depth=1
                                        ; =>  This Inner Loop Header: Depth=2
	s_wait_alu 0xfffe
	s_add_nc_u64 s[20:21], s[14:15], s[16:17]
	s_add_nc_u64 s[16:17], s[16:17], 1
	global_load_u8 v0, v13, s[20:21]
	s_wait_alu 0xfffe
	s_cmp_lg_u32 s2, s16
	s_wait_loadcnt 0x0
	v_and_b32_e32 v12, 0xffff, v0
	s_delay_alu instid0(VALU_DEP_1) | instskip(SKIP_1) | instid1(VALU_DEP_1)
	v_lshlrev_b64_e32 v[0:1], s0, v[12:13]
	s_add_nc_u64 s[0:1], s[0:1], 8
	v_or_b32_e32 v16, v0, v16
	s_delay_alu instid0(VALU_DEP_2)
	v_or_b32_e32 v17, v1, v17
	s_cbranch_scc1 .LBB1_50
.LBB1_51:                               ;   in Loop: Header=BB1_40 Depth=1
	s_mov_b64 s[0:1], s[14:15]
	s_mov_b32 s20, 0
	s_cbranch_execz .LBB1_53
	s_branch .LBB1_54
.LBB1_52:                               ;   in Loop: Header=BB1_40 Depth=1
	s_add_nc_u64 s[0:1], s[14:15], 8
                                        ; implicit-def: $vgpr16_vgpr17
	s_mov_b32 s20, 0
.LBB1_53:                               ;   in Loop: Header=BB1_40 Depth=1
	global_load_b64 v[16:17], v13, s[14:15]
	s_add_co_i32 s20, s2, -8
.LBB1_54:                               ;   in Loop: Header=BB1_40 Depth=1
	s_delay_alu instid0(SALU_CYCLE_1)
	s_cmp_gt_u32 s20, 7
	s_cbranch_scc1 .LBB1_59
; %bb.55:                               ;   in Loop: Header=BB1_40 Depth=1
	v_mov_b32_e32 v18, 0
	v_mov_b32_e32 v19, 0
	s_cmp_eq_u32 s20, 0
	s_cbranch_scc1 .LBB1_58
; %bb.56:                               ;   in Loop: Header=BB1_40 Depth=1
	s_mov_b64 s[14:15], 0
	s_mov_b64 s[16:17], 0
.LBB1_57:                               ;   Parent Loop BB1_40 Depth=1
                                        ; =>  This Inner Loop Header: Depth=2
	s_wait_alu 0xfffe
	s_add_nc_u64 s[22:23], s[0:1], s[16:17]
	s_add_nc_u64 s[16:17], s[16:17], 1
	global_load_u8 v0, v13, s[22:23]
	s_wait_alu 0xfffe
	s_cmp_lg_u32 s20, s16
	s_wait_loadcnt 0x0
	v_and_b32_e32 v12, 0xffff, v0
	s_delay_alu instid0(VALU_DEP_1) | instskip(SKIP_1) | instid1(VALU_DEP_1)
	v_lshlrev_b64_e32 v[0:1], s14, v[12:13]
	s_add_nc_u64 s[14:15], s[14:15], 8
	v_or_b32_e32 v18, v0, v18
	s_delay_alu instid0(VALU_DEP_2)
	v_or_b32_e32 v19, v1, v19
	s_cbranch_scc1 .LBB1_57
.LBB1_58:                               ;   in Loop: Header=BB1_40 Depth=1
	s_wait_alu 0xfffe
	s_mov_b64 s[14:15], s[0:1]
	s_mov_b32 s2, 0
	s_cbranch_execz .LBB1_60
	s_branch .LBB1_61
.LBB1_59:                               ;   in Loop: Header=BB1_40 Depth=1
	s_wait_alu 0xfffe
	s_add_nc_u64 s[14:15], s[0:1], 8
	s_mov_b32 s2, 0
.LBB1_60:                               ;   in Loop: Header=BB1_40 Depth=1
	global_load_b64 v[18:19], v13, s[0:1]
	s_add_co_i32 s2, s20, -8
.LBB1_61:                               ;   in Loop: Header=BB1_40 Depth=1
	s_wait_alu 0xfffe
	s_cmp_gt_u32 s2, 7
	s_cbranch_scc1 .LBB1_66
; %bb.62:                               ;   in Loop: Header=BB1_40 Depth=1
	v_mov_b32_e32 v20, 0
	v_mov_b32_e32 v21, 0
	s_cmp_eq_u32 s2, 0
	s_cbranch_scc1 .LBB1_65
; %bb.63:                               ;   in Loop: Header=BB1_40 Depth=1
	s_mov_b64 s[0:1], 0
	s_mov_b64 s[16:17], 0
.LBB1_64:                               ;   Parent Loop BB1_40 Depth=1
                                        ; =>  This Inner Loop Header: Depth=2
	s_wait_alu 0xfffe
	s_add_nc_u64 s[20:21], s[14:15], s[16:17]
	s_add_nc_u64 s[16:17], s[16:17], 1
	global_load_u8 v0, v13, s[20:21]
	s_wait_alu 0xfffe
	s_cmp_lg_u32 s2, s16
	s_wait_loadcnt 0x0
	v_and_b32_e32 v12, 0xffff, v0
	s_delay_alu instid0(VALU_DEP_1) | instskip(SKIP_1) | instid1(VALU_DEP_1)
	v_lshlrev_b64_e32 v[0:1], s0, v[12:13]
	s_add_nc_u64 s[0:1], s[0:1], 8
	v_or_b32_e32 v20, v0, v20
	s_delay_alu instid0(VALU_DEP_2)
	v_or_b32_e32 v21, v1, v21
	s_cbranch_scc1 .LBB1_64
.LBB1_65:                               ;   in Loop: Header=BB1_40 Depth=1
	s_mov_b64 s[0:1], s[14:15]
	s_mov_b32 s20, 0
	s_cbranch_execz .LBB1_67
	s_branch .LBB1_68
.LBB1_66:                               ;   in Loop: Header=BB1_40 Depth=1
	s_add_nc_u64 s[0:1], s[14:15], 8
                                        ; implicit-def: $vgpr20_vgpr21
	s_mov_b32 s20, 0
.LBB1_67:                               ;   in Loop: Header=BB1_40 Depth=1
	global_load_b64 v[20:21], v13, s[14:15]
	s_add_co_i32 s20, s2, -8
.LBB1_68:                               ;   in Loop: Header=BB1_40 Depth=1
	s_delay_alu instid0(SALU_CYCLE_1)
	s_cmp_gt_u32 s20, 7
	s_cbranch_scc1 .LBB1_73
; %bb.69:                               ;   in Loop: Header=BB1_40 Depth=1
	v_mov_b32_e32 v22, 0
	v_mov_b32_e32 v23, 0
	s_cmp_eq_u32 s20, 0
	s_cbranch_scc1 .LBB1_72
; %bb.70:                               ;   in Loop: Header=BB1_40 Depth=1
	s_mov_b64 s[14:15], 0
	s_mov_b64 s[16:17], 0
.LBB1_71:                               ;   Parent Loop BB1_40 Depth=1
                                        ; =>  This Inner Loop Header: Depth=2
	s_wait_alu 0xfffe
	s_add_nc_u64 s[22:23], s[0:1], s[16:17]
	s_add_nc_u64 s[16:17], s[16:17], 1
	global_load_u8 v0, v13, s[22:23]
	s_wait_alu 0xfffe
	s_cmp_lg_u32 s20, s16
	s_wait_loadcnt 0x0
	v_and_b32_e32 v12, 0xffff, v0
	s_delay_alu instid0(VALU_DEP_1) | instskip(SKIP_1) | instid1(VALU_DEP_1)
	v_lshlrev_b64_e32 v[0:1], s14, v[12:13]
	s_add_nc_u64 s[14:15], s[14:15], 8
	v_or_b32_e32 v22, v0, v22
	s_delay_alu instid0(VALU_DEP_2)
	v_or_b32_e32 v23, v1, v23
	s_cbranch_scc1 .LBB1_71
.LBB1_72:                               ;   in Loop: Header=BB1_40 Depth=1
	s_wait_alu 0xfffe
	s_mov_b64 s[14:15], s[0:1]
	s_mov_b32 s2, 0
	s_cbranch_execz .LBB1_74
	s_branch .LBB1_75
.LBB1_73:                               ;   in Loop: Header=BB1_40 Depth=1
	s_wait_alu 0xfffe
	s_add_nc_u64 s[14:15], s[0:1], 8
	s_mov_b32 s2, 0
.LBB1_74:                               ;   in Loop: Header=BB1_40 Depth=1
	global_load_b64 v[22:23], v13, s[0:1]
	s_add_co_i32 s2, s20, -8
.LBB1_75:                               ;   in Loop: Header=BB1_40 Depth=1
	s_wait_alu 0xfffe
	s_cmp_gt_u32 s2, 7
	s_cbranch_scc1 .LBB1_80
; %bb.76:                               ;   in Loop: Header=BB1_40 Depth=1
	v_mov_b32_e32 v24, 0
	v_mov_b32_e32 v25, 0
	s_cmp_eq_u32 s2, 0
	s_cbranch_scc1 .LBB1_79
; %bb.77:                               ;   in Loop: Header=BB1_40 Depth=1
	s_mov_b64 s[0:1], 0
	s_mov_b64 s[16:17], 0
.LBB1_78:                               ;   Parent Loop BB1_40 Depth=1
                                        ; =>  This Inner Loop Header: Depth=2
	s_wait_alu 0xfffe
	s_add_nc_u64 s[20:21], s[14:15], s[16:17]
	s_add_nc_u64 s[16:17], s[16:17], 1
	global_load_u8 v0, v13, s[20:21]
	s_wait_alu 0xfffe
	s_cmp_lg_u32 s2, s16
	s_wait_loadcnt 0x0
	v_and_b32_e32 v12, 0xffff, v0
	s_delay_alu instid0(VALU_DEP_1) | instskip(SKIP_1) | instid1(VALU_DEP_1)
	v_lshlrev_b64_e32 v[0:1], s0, v[12:13]
	s_add_nc_u64 s[0:1], s[0:1], 8
	v_or_b32_e32 v24, v0, v24
	s_delay_alu instid0(VALU_DEP_2)
	v_or_b32_e32 v25, v1, v25
	s_cbranch_scc1 .LBB1_78
.LBB1_79:                               ;   in Loop: Header=BB1_40 Depth=1
	s_mov_b64 s[0:1], s[14:15]
	s_mov_b32 s20, 0
	s_cbranch_execz .LBB1_81
	s_branch .LBB1_82
.LBB1_80:                               ;   in Loop: Header=BB1_40 Depth=1
	s_add_nc_u64 s[0:1], s[14:15], 8
                                        ; implicit-def: $vgpr24_vgpr25
	s_mov_b32 s20, 0
.LBB1_81:                               ;   in Loop: Header=BB1_40 Depth=1
	global_load_b64 v[24:25], v13, s[14:15]
	s_add_co_i32 s20, s2, -8
.LBB1_82:                               ;   in Loop: Header=BB1_40 Depth=1
	s_delay_alu instid0(SALU_CYCLE_1)
	s_cmp_gt_u32 s20, 7
	s_cbranch_scc1 .LBB1_87
; %bb.83:                               ;   in Loop: Header=BB1_40 Depth=1
	v_mov_b32_e32 v26, 0
	v_mov_b32_e32 v27, 0
	s_cmp_eq_u32 s20, 0
	s_cbranch_scc1 .LBB1_86
; %bb.84:                               ;   in Loop: Header=BB1_40 Depth=1
	s_mov_b64 s[14:15], 0
	s_wait_alu 0xfffe
	s_mov_b64 s[16:17], s[0:1]
.LBB1_85:                               ;   Parent Loop BB1_40 Depth=1
                                        ; =>  This Inner Loop Header: Depth=2
	global_load_u8 v0, v13, s[16:17]
	s_add_co_i32 s20, s20, -1
	s_wait_alu 0xfffe
	s_add_nc_u64 s[16:17], s[16:17], 1
	s_cmp_lg_u32 s20, 0
	s_wait_loadcnt 0x0
	v_and_b32_e32 v12, 0xffff, v0
	s_delay_alu instid0(VALU_DEP_1) | instskip(SKIP_1) | instid1(VALU_DEP_1)
	v_lshlrev_b64_e32 v[0:1], s14, v[12:13]
	s_add_nc_u64 s[14:15], s[14:15], 8
	v_or_b32_e32 v26, v0, v26
	s_delay_alu instid0(VALU_DEP_2)
	v_or_b32_e32 v27, v1, v27
	s_cbranch_scc1 .LBB1_85
.LBB1_86:                               ;   in Loop: Header=BB1_40 Depth=1
	s_cbranch_execz .LBB1_88
	s_branch .LBB1_89
.LBB1_87:                               ;   in Loop: Header=BB1_40 Depth=1
.LBB1_88:                               ;   in Loop: Header=BB1_40 Depth=1
	global_load_b64 v[26:27], v13, s[0:1]
.LBB1_89:                               ;   in Loop: Header=BB1_40 Depth=1
	v_readfirstlane_b32 s0, v33
	v_mov_b32_e32 v0, 0
	v_mov_b32_e32 v1, 0
	s_wait_alu 0xf1fe
	s_delay_alu instid0(VALU_DEP_3)
	v_cmp_eq_u32_e64 s0, s0, v33
	s_and_saveexec_b32 s1, s0
	s_cbranch_execz .LBB1_95
; %bb.90:                               ;   in Loop: Header=BB1_40 Depth=1
	global_load_b64 v[30:31], v13, s[4:5] offset:24 scope:SCOPE_SYS
	s_wait_loadcnt 0x0
	global_inv scope:SCOPE_SYS
	s_clause 0x1
	global_load_b64 v[0:1], v13, s[4:5] offset:40
	global_load_b64 v[3:4], v13, s[4:5]
	s_mov_b32 s2, exec_lo
	s_wait_loadcnt 0x1
	v_and_b32_e32 v1, v1, v31
	v_and_b32_e32 v0, v0, v30
	s_delay_alu instid0(VALU_DEP_2) | instskip(NEXT) | instid1(VALU_DEP_2)
	v_mul_lo_u32 v1, 24, v1
	v_mul_lo_u32 v12, 0, v0
	v_mul_hi_u32 v28, 24, v0
	v_mul_lo_u32 v0, 24, v0
	s_delay_alu instid0(VALU_DEP_3) | instskip(SKIP_1) | instid1(VALU_DEP_2)
	v_add_nc_u32_e32 v1, v1, v12
	s_wait_loadcnt 0x0
	v_add_co_u32 v0, vcc_lo, v3, v0
	s_delay_alu instid0(VALU_DEP_2) | instskip(SKIP_1) | instid1(VALU_DEP_1)
	v_add_nc_u32_e32 v1, v1, v28
	s_wait_alu 0xfffd
	v_add_co_ci_u32_e64 v1, null, v4, v1, vcc_lo
	global_load_b64 v[28:29], v[0:1], off scope:SCOPE_SYS
	s_wait_loadcnt 0x0
	global_atomic_cmpswap_b64 v[0:1], v13, v[28:31], s[4:5] offset:24 th:TH_ATOMIC_RETURN scope:SCOPE_SYS
	s_wait_loadcnt 0x0
	global_inv scope:SCOPE_SYS
	v_cmpx_ne_u64_e64 v[0:1], v[30:31]
	s_cbranch_execz .LBB1_94
; %bb.91:                               ;   in Loop: Header=BB1_40 Depth=1
	s_mov_b32 s14, 0
.LBB1_92:                               ;   Parent Loop BB1_40 Depth=1
                                        ; =>  This Inner Loop Header: Depth=2
	s_sleep 1
	s_clause 0x1
	global_load_b64 v[3:4], v13, s[4:5] offset:40
	global_load_b64 v[28:29], v13, s[4:5]
	v_dual_mov_b32 v31, v1 :: v_dual_mov_b32 v30, v0
	s_wait_loadcnt 0x1
	s_delay_alu instid0(VALU_DEP_1) | instskip(NEXT) | instid1(VALU_DEP_2)
	v_and_b32_e32 v0, v3, v30
	v_and_b32_e32 v3, v4, v31
	s_wait_loadcnt 0x0
	s_delay_alu instid0(VALU_DEP_2) | instskip(NEXT) | instid1(VALU_DEP_1)
	v_mad_co_u64_u32 v[0:1], null, v0, 24, v[28:29]
	v_mad_co_u64_u32 v[3:4], null, v3, 24, v[1:2]
	s_delay_alu instid0(VALU_DEP_1)
	v_mov_b32_e32 v1, v3
	global_load_b64 v[28:29], v[0:1], off scope:SCOPE_SYS
	s_wait_loadcnt 0x0
	global_atomic_cmpswap_b64 v[0:1], v13, v[28:31], s[4:5] offset:24 th:TH_ATOMIC_RETURN scope:SCOPE_SYS
	s_wait_loadcnt 0x0
	global_inv scope:SCOPE_SYS
	v_cmp_eq_u64_e32 vcc_lo, v[0:1], v[30:31]
	s_wait_alu 0xfffe
	s_or_b32 s14, vcc_lo, s14
	s_wait_alu 0xfffe
	s_and_not1_b32 exec_lo, exec_lo, s14
	s_cbranch_execnz .LBB1_92
; %bb.93:                               ;   in Loop: Header=BB1_40 Depth=1
	s_or_b32 exec_lo, exec_lo, s14
.LBB1_94:                               ;   in Loop: Header=BB1_40 Depth=1
	s_wait_alu 0xfffe
	s_or_b32 exec_lo, exec_lo, s2
.LBB1_95:                               ;   in Loop: Header=BB1_40 Depth=1
	s_wait_alu 0xfffe
	s_or_b32 exec_lo, exec_lo, s1
	s_clause 0x1
	global_load_b64 v[3:4], v13, s[4:5] offset:40
	global_load_b128 v[28:31], v13, s[4:5]
	v_readfirstlane_b32 s15, v1
	v_readfirstlane_b32 s14, v0
	s_mov_b32 s1, exec_lo
	s_wait_loadcnt 0x1
	s_wait_alu 0xf1ff
	v_and_b32_e32 v4, s15, v4
	v_and_b32_e32 v3, s14, v3
	s_delay_alu instid0(VALU_DEP_2) | instskip(NEXT) | instid1(VALU_DEP_2)
	v_mul_lo_u32 v0, 24, v4
	v_mul_lo_u32 v1, 0, v3
	v_mul_hi_u32 v12, 24, v3
	v_mul_lo_u32 v36, 24, v3
	s_delay_alu instid0(VALU_DEP_3) | instskip(NEXT) | instid1(VALU_DEP_1)
	v_add_nc_u32_e32 v0, v0, v1
	v_add_nc_u32_e32 v1, v0, v12
	s_wait_loadcnt 0x0
	s_delay_alu instid0(VALU_DEP_3) | instskip(SKIP_1) | instid1(VALU_DEP_2)
	v_add_co_u32 v0, vcc_lo, v28, v36
	s_wait_alu 0xfffd
	v_add_co_ci_u32_e64 v1, null, v29, v1, vcc_lo
	s_and_saveexec_b32 s2, s0
	s_cbranch_execz .LBB1_97
; %bb.96:                               ;   in Loop: Header=BB1_40 Depth=1
	s_wait_alu 0xfffe
	v_mov_b32_e32 v12, s1
	global_store_b128 v[0:1], v[12:15], off offset:8
.LBB1_97:                               ;   in Loop: Header=BB1_40 Depth=1
	s_wait_alu 0xfffe
	s_or_b32 exec_lo, exec_lo, s2
	v_cmp_lt_u64_e64 vcc_lo, s[10:11], 57
	v_lshlrev_b64_e32 v[3:4], 12, v[3:4]
	v_and_b32_e32 v8, 0xffffff1f, v8
	s_lshl_b32 s1, s12, 2
	s_wait_alu 0xfffe
	s_add_co_i32 s1, s1, 28
	s_wait_alu 0xfffd
	v_cndmask_b32_e32 v12, 0, v35, vcc_lo
	v_add_co_u32 v30, vcc_lo, v30, v3
	s_wait_alu 0xfffd
	v_add_co_ci_u32_e64 v31, null, v31, v4, vcc_lo
	s_delay_alu instid0(VALU_DEP_3) | instskip(NEXT) | instid1(VALU_DEP_3)
	v_or_b32_e32 v8, v8, v12
	v_readfirstlane_b32 s16, v30
	s_delay_alu instid0(VALU_DEP_3) | instskip(SKIP_1) | instid1(VALU_DEP_3)
	v_readfirstlane_b32 s17, v31
	s_wait_alu 0xfffe
	v_and_or_b32 v8, 0x1e0, s1, v8
	s_clause 0x3
	global_store_b128 v32, v[8:11], s[16:17]
	global_store_b128 v32, v[16:19], s[16:17] offset:16
	global_store_b128 v32, v[20:23], s[16:17] offset:32
	;; [unrolled: 1-line block ×3, first 2 shown]
	s_and_saveexec_b32 s1, s0
	s_cbranch_execz .LBB1_105
; %bb.98:                               ;   in Loop: Header=BB1_40 Depth=1
	s_clause 0x1
	global_load_b64 v[18:19], v13, s[4:5] offset:32 scope:SCOPE_SYS
	global_load_b64 v[3:4], v13, s[4:5] offset:40
	s_mov_b32 s2, exec_lo
	v_dual_mov_b32 v16, s14 :: v_dual_mov_b32 v17, s15
	s_wait_loadcnt 0x0
	v_and_b32_e32 v4, s15, v4
	v_and_b32_e32 v3, s14, v3
	s_delay_alu instid0(VALU_DEP_2) | instskip(NEXT) | instid1(VALU_DEP_2)
	v_mul_lo_u32 v4, 24, v4
	v_mul_lo_u32 v8, 0, v3
	v_mul_hi_u32 v9, 24, v3
	v_mul_lo_u32 v3, 24, v3
	s_delay_alu instid0(VALU_DEP_3) | instskip(NEXT) | instid1(VALU_DEP_2)
	v_add_nc_u32_e32 v4, v4, v8
	v_add_co_u32 v3, vcc_lo, v28, v3
	s_delay_alu instid0(VALU_DEP_2) | instskip(SKIP_1) | instid1(VALU_DEP_1)
	v_add_nc_u32_e32 v4, v4, v9
	s_wait_alu 0xfffd
	v_add_co_ci_u32_e64 v4, null, v29, v4, vcc_lo
	global_store_b64 v[3:4], v[18:19], off
	global_wb scope:SCOPE_SYS
	s_wait_storecnt 0x0
	global_atomic_cmpswap_b64 v[10:11], v13, v[16:19], s[4:5] offset:32 th:TH_ATOMIC_RETURN scope:SCOPE_SYS
	s_wait_loadcnt 0x0
	v_cmpx_ne_u64_e64 v[10:11], v[18:19]
	s_cbranch_execz .LBB1_101
; %bb.99:                               ;   in Loop: Header=BB1_40 Depth=1
	s_mov_b32 s16, 0
.LBB1_100:                              ;   Parent Loop BB1_40 Depth=1
                                        ; =>  This Inner Loop Header: Depth=2
	v_dual_mov_b32 v8, s14 :: v_dual_mov_b32 v9, s15
	s_sleep 1
	global_store_b64 v[3:4], v[10:11], off
	global_wb scope:SCOPE_SYS
	s_wait_storecnt 0x0
	global_atomic_cmpswap_b64 v[8:9], v13, v[8:11], s[4:5] offset:32 th:TH_ATOMIC_RETURN scope:SCOPE_SYS
	s_wait_loadcnt 0x0
	v_cmp_eq_u64_e32 vcc_lo, v[8:9], v[10:11]
	v_dual_mov_b32 v11, v9 :: v_dual_mov_b32 v10, v8
	s_wait_alu 0xfffe
	s_or_b32 s16, vcc_lo, s16
	s_wait_alu 0xfffe
	s_and_not1_b32 exec_lo, exec_lo, s16
	s_cbranch_execnz .LBB1_100
.LBB1_101:                              ;   in Loop: Header=BB1_40 Depth=1
	s_wait_alu 0xfffe
	s_or_b32 exec_lo, exec_lo, s2
	global_load_b64 v[3:4], v13, s[4:5] offset:16
	s_mov_b32 s16, exec_lo
	s_mov_b32 s2, exec_lo
	s_wait_alu 0xfffe
	v_mbcnt_lo_u32_b32 v8, s16, 0
	s_delay_alu instid0(VALU_DEP_1)
	v_cmpx_eq_u32_e32 0, v8
	s_cbranch_execz .LBB1_103
; %bb.102:                              ;   in Loop: Header=BB1_40 Depth=1
	s_bcnt1_i32_b32 s16, s16
	s_wait_alu 0xfffe
	v_mov_b32_e32 v12, s16
	global_wb scope:SCOPE_SYS
	s_wait_loadcnt 0x0
	s_wait_storecnt 0x0
	global_atomic_add_u64 v[3:4], v[12:13], off offset:8 scope:SCOPE_SYS
.LBB1_103:                              ;   in Loop: Header=BB1_40 Depth=1
	s_wait_alu 0xfffe
	s_or_b32 exec_lo, exec_lo, s2
	s_wait_loadcnt 0x0
	global_load_b64 v[8:9], v[3:4], off offset:16
	s_wait_loadcnt 0x0
	v_cmp_eq_u64_e32 vcc_lo, 0, v[8:9]
	s_cbranch_vccnz .LBB1_105
; %bb.104:                              ;   in Loop: Header=BB1_40 Depth=1
	global_load_b32 v12, v[3:4], off offset:24
	s_wait_loadcnt 0x0
	v_readfirstlane_b32 s2, v12
	global_wb scope:SCOPE_SYS
	s_wait_storecnt 0x0
	global_store_b64 v[8:9], v[12:13], off scope:SCOPE_SYS
	s_and_b32 m0, s2, 0xffffff
	s_sendmsg sendmsg(MSG_INTERRUPT)
.LBB1_105:                              ;   in Loop: Header=BB1_40 Depth=1
	s_wait_alu 0xfffe
	s_or_b32 exec_lo, exec_lo, s1
	v_add_co_u32 v3, vcc_lo, v30, v32
	s_wait_alu 0xfffd
	v_add_co_ci_u32_e64 v4, null, 0, v31, vcc_lo
	s_branch .LBB1_109
.LBB1_106:                              ;   in Loop: Header=BB1_109 Depth=2
	s_wait_alu 0xfffe
	s_or_b32 exec_lo, exec_lo, s1
	s_delay_alu instid0(VALU_DEP_1)
	v_readfirstlane_b32 s1, v8
	s_cmp_eq_u32 s1, 0
	s_cbranch_scc1 .LBB1_108
; %bb.107:                              ;   in Loop: Header=BB1_109 Depth=2
	s_sleep 1
	s_cbranch_execnz .LBB1_109
	s_branch .LBB1_111
.LBB1_108:                              ;   in Loop: Header=BB1_40 Depth=1
	s_branch .LBB1_111
.LBB1_109:                              ;   Parent Loop BB1_40 Depth=1
                                        ; =>  This Inner Loop Header: Depth=2
	v_mov_b32_e32 v8, 1
	s_and_saveexec_b32 s1, s0
	s_cbranch_execz .LBB1_106
; %bb.110:                              ;   in Loop: Header=BB1_109 Depth=2
	global_load_b32 v8, v[0:1], off offset:20 scope:SCOPE_SYS
	s_wait_loadcnt 0x0
	global_inv scope:SCOPE_SYS
	v_and_b32_e32 v8, 1, v8
	s_branch .LBB1_106
.LBB1_111:                              ;   in Loop: Header=BB1_40 Depth=1
	global_load_b64 v[8:9], v[3:4], off
	s_and_saveexec_b32 s2, s0
	s_cbranch_execz .LBB1_39
; %bb.112:                              ;   in Loop: Header=BB1_40 Depth=1
	s_clause 0x2
	global_load_b64 v[0:1], v13, s[4:5] offset:40
	global_load_b64 v[20:21], v13, s[4:5] offset:24 scope:SCOPE_SYS
	global_load_b64 v[3:4], v13, s[4:5]
	s_wait_loadcnt 0x2
	v_readfirstlane_b32 s16, v0
	v_readfirstlane_b32 s17, v1
	s_add_nc_u64 s[0:1], s[16:17], 1
	s_wait_alu 0xfffe
	s_add_nc_u64 s[14:15], s[0:1], s[14:15]
	s_wait_alu 0xfffe
	s_cmp_eq_u64 s[14:15], 0
	s_cselect_b32 s1, s1, s15
	s_cselect_b32 s0, s0, s14
	s_wait_alu 0xfffe
	v_dual_mov_b32 v19, s1 :: v_dual_mov_b32 v18, s0
	s_and_b64 s[14:15], s[0:1], s[16:17]
	s_wait_alu 0xfffe
	s_mul_u64 s[14:15], s[14:15], 24
	s_wait_loadcnt 0x0
	s_wait_alu 0xfffe
	v_add_co_u32 v0, vcc_lo, v3, s14
	s_wait_alu 0xfffd
	v_add_co_ci_u32_e64 v1, null, s15, v4, vcc_lo
	global_store_b64 v[0:1], v[20:21], off
	global_wb scope:SCOPE_SYS
	s_wait_storecnt 0x0
	global_atomic_cmpswap_b64 v[18:19], v13, v[18:21], s[4:5] offset:24 th:TH_ATOMIC_RETURN scope:SCOPE_SYS
	s_wait_loadcnt 0x0
	v_cmp_ne_u64_e32 vcc_lo, v[18:19], v[20:21]
	s_and_b32 exec_lo, exec_lo, vcc_lo
	s_cbranch_execz .LBB1_39
; %bb.113:                              ;   in Loop: Header=BB1_40 Depth=1
	s_mov_b32 s14, 0
.LBB1_114:                              ;   Parent Loop BB1_40 Depth=1
                                        ; =>  This Inner Loop Header: Depth=2
	v_dual_mov_b32 v16, s0 :: v_dual_mov_b32 v17, s1
	s_sleep 1
	global_store_b64 v[0:1], v[18:19], off
	global_wb scope:SCOPE_SYS
	s_wait_storecnt 0x0
	global_atomic_cmpswap_b64 v[3:4], v13, v[16:19], s[4:5] offset:24 th:TH_ATOMIC_RETURN scope:SCOPE_SYS
	s_wait_loadcnt 0x0
	v_cmp_eq_u64_e32 vcc_lo, v[3:4], v[18:19]
	v_dual_mov_b32 v19, v4 :: v_dual_mov_b32 v18, v3
	s_wait_alu 0xfffe
	s_or_b32 s14, vcc_lo, s14
	s_wait_alu 0xfffe
	s_and_not1_b32 exec_lo, exec_lo, s14
	s_cbranch_execnz .LBB1_114
	s_branch .LBB1_39
.LBB1_115:
	s_mov_b32 s0, 0
	s_branch .LBB1_117
.LBB1_116:
	s_mov_b32 s0, -1
                                        ; implicit-def: $vgpr8_vgpr9
.LBB1_117:
	s_wait_alu 0xfffe
	s_and_b32 vcc_lo, exec_lo, s0
	s_wait_alu 0xfffe
	s_cbranch_vccz .LBB1_145
; %bb.118:
	v_readfirstlane_b32 s0, v33
	v_mov_b32_e32 v0, 0
	v_mov_b32_e32 v1, 0
	s_wait_alu 0xf1ff
	s_delay_alu instid0(VALU_DEP_3)
	v_cmp_eq_u32_e64 s0, s0, v33
	s_and_saveexec_b32 s1, s0
	s_cbranch_execz .LBB1_124
; %bb.119:
	v_mov_b32_e32 v3, 0
	s_mov_b32 s2, exec_lo
	global_load_b64 v[10:11], v3, s[4:5] offset:24 scope:SCOPE_SYS
	s_wait_loadcnt 0x0
	global_inv scope:SCOPE_SYS
	s_clause 0x1
	global_load_b64 v[0:1], v3, s[4:5] offset:40
	global_load_b64 v[8:9], v3, s[4:5]
	s_wait_loadcnt 0x1
	v_and_b32_e32 v1, v1, v11
	v_and_b32_e32 v0, v0, v10
	s_delay_alu instid0(VALU_DEP_2) | instskip(NEXT) | instid1(VALU_DEP_2)
	v_mul_lo_u32 v1, 24, v1
	v_mul_lo_u32 v4, 0, v0
	v_mul_hi_u32 v12, 24, v0
	v_mul_lo_u32 v0, 24, v0
	s_delay_alu instid0(VALU_DEP_3) | instskip(SKIP_1) | instid1(VALU_DEP_2)
	v_add_nc_u32_e32 v1, v1, v4
	s_wait_loadcnt 0x0
	v_add_co_u32 v0, vcc_lo, v8, v0
	s_delay_alu instid0(VALU_DEP_2) | instskip(SKIP_1) | instid1(VALU_DEP_1)
	v_add_nc_u32_e32 v1, v1, v12
	s_wait_alu 0xfffd
	v_add_co_ci_u32_e64 v1, null, v9, v1, vcc_lo
	global_load_b64 v[8:9], v[0:1], off scope:SCOPE_SYS
	s_wait_loadcnt 0x0
	global_atomic_cmpswap_b64 v[0:1], v3, v[8:11], s[4:5] offset:24 th:TH_ATOMIC_RETURN scope:SCOPE_SYS
	s_wait_loadcnt 0x0
	global_inv scope:SCOPE_SYS
	v_cmpx_ne_u64_e64 v[0:1], v[10:11]
	s_cbranch_execz .LBB1_123
; %bb.120:
	s_mov_b32 s8, 0
.LBB1_121:                              ; =>This Inner Loop Header: Depth=1
	s_sleep 1
	s_clause 0x1
	global_load_b64 v[8:9], v3, s[4:5] offset:40
	global_load_b64 v[12:13], v3, s[4:5]
	v_dual_mov_b32 v11, v1 :: v_dual_mov_b32 v10, v0
	s_wait_loadcnt 0x1
	s_delay_alu instid0(VALU_DEP_1) | instskip(NEXT) | instid1(VALU_DEP_2)
	v_and_b32_e32 v0, v8, v10
	v_and_b32_e32 v4, v9, v11
	s_wait_loadcnt 0x0
	s_delay_alu instid0(VALU_DEP_2) | instskip(NEXT) | instid1(VALU_DEP_1)
	v_mad_co_u64_u32 v[0:1], null, v0, 24, v[12:13]
	v_mad_co_u64_u32 v[8:9], null, v4, 24, v[1:2]
	s_delay_alu instid0(VALU_DEP_1)
	v_mov_b32_e32 v1, v8
	global_load_b64 v[8:9], v[0:1], off scope:SCOPE_SYS
	s_wait_loadcnt 0x0
	global_atomic_cmpswap_b64 v[0:1], v3, v[8:11], s[4:5] offset:24 th:TH_ATOMIC_RETURN scope:SCOPE_SYS
	s_wait_loadcnt 0x0
	global_inv scope:SCOPE_SYS
	v_cmp_eq_u64_e32 vcc_lo, v[0:1], v[10:11]
	s_wait_alu 0xfffe
	s_or_b32 s8, vcc_lo, s8
	s_wait_alu 0xfffe
	s_and_not1_b32 exec_lo, exec_lo, s8
	s_cbranch_execnz .LBB1_121
; %bb.122:
	s_or_b32 exec_lo, exec_lo, s8
.LBB1_123:
	s_wait_alu 0xfffe
	s_or_b32 exec_lo, exec_lo, s2
.LBB1_124:
	s_wait_alu 0xfffe
	s_or_b32 exec_lo, exec_lo, s1
	v_readfirstlane_b32 s8, v0
	s_wait_loadcnt 0x0
	v_mov_b32_e32 v8, 0
	v_readfirstlane_b32 s9, v1
	s_mov_b32 s1, exec_lo
	s_clause 0x1
	global_load_b64 v[3:4], v8, s[4:5] offset:40
	global_load_b128 v[10:13], v8, s[4:5]
	s_wait_loadcnt 0x1
	s_wait_alu 0xf1ff
	v_and_b32_e32 v4, s9, v4
	v_and_b32_e32 v3, s8, v3
	s_delay_alu instid0(VALU_DEP_2) | instskip(NEXT) | instid1(VALU_DEP_2)
	v_mul_lo_u32 v0, 24, v4
	v_mul_lo_u32 v1, 0, v3
	v_mul_hi_u32 v9, 24, v3
	v_mul_lo_u32 v14, 24, v3
	s_delay_alu instid0(VALU_DEP_3) | instskip(NEXT) | instid1(VALU_DEP_1)
	v_add_nc_u32_e32 v0, v0, v1
	v_add_nc_u32_e32 v1, v0, v9
	s_wait_loadcnt 0x0
	s_delay_alu instid0(VALU_DEP_3) | instskip(SKIP_1) | instid1(VALU_DEP_2)
	v_add_co_u32 v0, vcc_lo, v10, v14
	s_wait_alu 0xfffd
	v_add_co_ci_u32_e64 v1, null, v11, v1, vcc_lo
	s_and_saveexec_b32 s2, s0
	s_cbranch_execz .LBB1_126
; %bb.125:
	s_wait_alu 0xfffe
	v_dual_mov_b32 v14, s1 :: v_dual_mov_b32 v15, v8
	v_dual_mov_b32 v16, 2 :: v_dual_mov_b32 v17, 1
	global_store_b128 v[0:1], v[14:17], off offset:8
.LBB1_126:
	s_wait_alu 0xfffe
	s_or_b32 exec_lo, exec_lo, s2
	v_lshlrev_b64_e32 v[3:4], 12, v[3:4]
	s_mov_b32 s12, 0
	v_and_or_b32 v6, 0xffffff1f, v6, 32
	s_wait_alu 0xfffe
	s_mov_b32 s13, s12
	s_mov_b32 s14, s12
	;; [unrolled: 1-line block ×3, first 2 shown]
	v_add_co_u32 v3, vcc_lo, v12, v3
	s_wait_alu 0xfffd
	v_add_co_ci_u32_e64 v4, null, v13, v4, vcc_lo
	v_dual_mov_b32 v9, v8 :: v_dual_mov_b32 v12, s12
	s_delay_alu instid0(VALU_DEP_3) | instskip(SKIP_1) | instid1(VALU_DEP_4)
	v_readfirstlane_b32 s10, v3
	v_add_co_u32 v3, vcc_lo, v3, v32
	v_readfirstlane_b32 s11, v4
	s_wait_alu 0xfffd
	v_add_co_ci_u32_e64 v4, null, 0, v4, vcc_lo
	s_wait_alu 0xfffe
	v_dual_mov_b32 v13, s13 :: v_dual_mov_b32 v14, s14
	v_mov_b32_e32 v15, s15
	s_clause 0x3
	global_store_b128 v32, v[6:9], s[10:11]
	global_store_b128 v32, v[12:15], s[10:11] offset:16
	global_store_b128 v32, v[12:15], s[10:11] offset:32
	global_store_b128 v32, v[12:15], s[10:11] offset:48
	s_and_saveexec_b32 s1, s0
	s_cbranch_execz .LBB1_134
; %bb.127:
	v_mov_b32_e32 v12, 0
	s_mov_b32 s2, exec_lo
	s_clause 0x1
	global_load_b64 v[15:16], v12, s[4:5] offset:32 scope:SCOPE_SYS
	global_load_b64 v[6:7], v12, s[4:5] offset:40
	v_dual_mov_b32 v13, s8 :: v_dual_mov_b32 v14, s9
	s_wait_loadcnt 0x0
	v_and_b32_e32 v7, s9, v7
	v_and_b32_e32 v6, s8, v6
	s_delay_alu instid0(VALU_DEP_2) | instskip(NEXT) | instid1(VALU_DEP_2)
	v_mul_lo_u32 v7, 24, v7
	v_mul_lo_u32 v8, 0, v6
	v_mul_hi_u32 v9, 24, v6
	v_mul_lo_u32 v6, 24, v6
	s_delay_alu instid0(VALU_DEP_3) | instskip(NEXT) | instid1(VALU_DEP_2)
	v_add_nc_u32_e32 v7, v7, v8
	v_add_co_u32 v10, vcc_lo, v10, v6
	s_delay_alu instid0(VALU_DEP_2) | instskip(SKIP_1) | instid1(VALU_DEP_1)
	v_add_nc_u32_e32 v7, v7, v9
	s_wait_alu 0xfffd
	v_add_co_ci_u32_e64 v11, null, v11, v7, vcc_lo
	global_store_b64 v[10:11], v[15:16], off
	global_wb scope:SCOPE_SYS
	s_wait_storecnt 0x0
	global_atomic_cmpswap_b64 v[8:9], v12, v[13:16], s[4:5] offset:32 th:TH_ATOMIC_RETURN scope:SCOPE_SYS
	s_wait_loadcnt 0x0
	v_cmpx_ne_u64_e64 v[8:9], v[15:16]
	s_cbranch_execz .LBB1_130
; %bb.128:
	s_mov_b32 s10, 0
.LBB1_129:                              ; =>This Inner Loop Header: Depth=1
	v_dual_mov_b32 v6, s8 :: v_dual_mov_b32 v7, s9
	s_sleep 1
	global_store_b64 v[10:11], v[8:9], off
	global_wb scope:SCOPE_SYS
	s_wait_storecnt 0x0
	global_atomic_cmpswap_b64 v[6:7], v12, v[6:9], s[4:5] offset:32 th:TH_ATOMIC_RETURN scope:SCOPE_SYS
	s_wait_loadcnt 0x0
	v_cmp_eq_u64_e32 vcc_lo, v[6:7], v[8:9]
	v_dual_mov_b32 v9, v7 :: v_dual_mov_b32 v8, v6
	s_wait_alu 0xfffe
	s_or_b32 s10, vcc_lo, s10
	s_wait_alu 0xfffe
	s_and_not1_b32 exec_lo, exec_lo, s10
	s_cbranch_execnz .LBB1_129
.LBB1_130:
	s_wait_alu 0xfffe
	s_or_b32 exec_lo, exec_lo, s2
	v_mov_b32_e32 v9, 0
	s_mov_b32 s10, exec_lo
	s_mov_b32 s2, exec_lo
	s_wait_alu 0xfffe
	v_mbcnt_lo_u32_b32 v8, s10, 0
	global_load_b64 v[6:7], v9, s[4:5] offset:16
	v_cmpx_eq_u32_e32 0, v8
	s_cbranch_execz .LBB1_132
; %bb.131:
	s_bcnt1_i32_b32 s10, s10
	s_wait_alu 0xfffe
	v_mov_b32_e32 v8, s10
	global_wb scope:SCOPE_SYS
	s_wait_loadcnt 0x0
	s_wait_storecnt 0x0
	global_atomic_add_u64 v[6:7], v[8:9], off offset:8 scope:SCOPE_SYS
.LBB1_132:
	s_or_b32 exec_lo, exec_lo, s2
	s_wait_loadcnt 0x0
	global_load_b64 v[8:9], v[6:7], off offset:16
	s_wait_loadcnt 0x0
	v_cmp_eq_u64_e32 vcc_lo, 0, v[8:9]
	s_cbranch_vccnz .LBB1_134
; %bb.133:
	global_load_b32 v6, v[6:7], off offset:24
	v_mov_b32_e32 v7, 0
	s_wait_loadcnt 0x0
	v_readfirstlane_b32 s2, v6
	global_wb scope:SCOPE_SYS
	s_wait_storecnt 0x0
	global_store_b64 v[8:9], v[6:7], off scope:SCOPE_SYS
	s_and_b32 m0, s2, 0xffffff
	s_sendmsg sendmsg(MSG_INTERRUPT)
.LBB1_134:
	s_wait_alu 0xfffe
	s_or_b32 exec_lo, exec_lo, s1
	s_branch .LBB1_138
.LBB1_135:                              ;   in Loop: Header=BB1_138 Depth=1
	s_wait_alu 0xfffe
	s_or_b32 exec_lo, exec_lo, s1
	s_delay_alu instid0(VALU_DEP_1)
	v_readfirstlane_b32 s1, v6
	s_cmp_eq_u32 s1, 0
	s_cbranch_scc1 .LBB1_137
; %bb.136:                              ;   in Loop: Header=BB1_138 Depth=1
	s_sleep 1
	s_cbranch_execnz .LBB1_138
	s_branch .LBB1_140
.LBB1_137:
	s_branch .LBB1_140
.LBB1_138:                              ; =>This Inner Loop Header: Depth=1
	v_mov_b32_e32 v6, 1
	s_and_saveexec_b32 s1, s0
	s_cbranch_execz .LBB1_135
; %bb.139:                              ;   in Loop: Header=BB1_138 Depth=1
	global_load_b32 v6, v[0:1], off offset:20 scope:SCOPE_SYS
	s_wait_loadcnt 0x0
	global_inv scope:SCOPE_SYS
	v_and_b32_e32 v6, 1, v6
	s_branch .LBB1_135
.LBB1_140:
	global_load_b64 v[8:9], v[3:4], off
	s_and_saveexec_b32 s2, s0
	s_cbranch_execz .LBB1_144
; %bb.141:
	v_mov_b32_e32 v3, 0
	s_clause 0x2
	global_load_b64 v[0:1], v3, s[4:5] offset:40
	global_load_b64 v[14:15], v3, s[4:5] offset:24 scope:SCOPE_SYS
	global_load_b64 v[6:7], v3, s[4:5]
	s_wait_loadcnt 0x2
	v_readfirstlane_b32 s10, v0
	v_readfirstlane_b32 s11, v1
	s_add_nc_u64 s[0:1], s[10:11], 1
	s_wait_alu 0xfffe
	s_add_nc_u64 s[8:9], s[0:1], s[8:9]
	s_wait_alu 0xfffe
	s_cmp_eq_u64 s[8:9], 0
	s_cselect_b32 s1, s1, s9
	s_cselect_b32 s0, s0, s8
	s_wait_alu 0xfffe
	v_mov_b32_e32 v13, s1
	s_and_b64 s[8:9], s[0:1], s[10:11]
	v_mov_b32_e32 v12, s0
	s_wait_alu 0xfffe
	s_mul_u64 s[8:9], s[8:9], 24
	s_wait_loadcnt 0x0
	s_wait_alu 0xfffe
	v_add_co_u32 v0, vcc_lo, v6, s8
	s_wait_alu 0xfffd
	v_add_co_ci_u32_e64 v1, null, s9, v7, vcc_lo
	global_store_b64 v[0:1], v[14:15], off
	global_wb scope:SCOPE_SYS
	s_wait_storecnt 0x0
	global_atomic_cmpswap_b64 v[12:13], v3, v[12:15], s[4:5] offset:24 th:TH_ATOMIC_RETURN scope:SCOPE_SYS
	s_wait_loadcnt 0x0
	v_cmp_ne_u64_e32 vcc_lo, v[12:13], v[14:15]
	s_and_b32 exec_lo, exec_lo, vcc_lo
	s_cbranch_execz .LBB1_144
; %bb.142:
	s_mov_b32 s8, 0
.LBB1_143:                              ; =>This Inner Loop Header: Depth=1
	v_dual_mov_b32 v10, s0 :: v_dual_mov_b32 v11, s1
	s_sleep 1
	global_store_b64 v[0:1], v[12:13], off
	global_wb scope:SCOPE_SYS
	s_wait_storecnt 0x0
	global_atomic_cmpswap_b64 v[6:7], v3, v[10:13], s[4:5] offset:24 th:TH_ATOMIC_RETURN scope:SCOPE_SYS
	s_wait_loadcnt 0x0
	v_cmp_eq_u64_e32 vcc_lo, v[6:7], v[12:13]
	v_dual_mov_b32 v13, v7 :: v_dual_mov_b32 v12, v6
	s_wait_alu 0xfffe
	s_or_b32 s8, vcc_lo, s8
	s_wait_alu 0xfffe
	s_and_not1_b32 exec_lo, exec_lo, s8
	s_cbranch_execnz .LBB1_143
.LBB1_144:
	s_wait_alu 0xfffe
	s_or_b32 exec_lo, exec_lo, s2
.LBB1_145:
	v_readfirstlane_b32 s0, v33
	v_mov_b32_e32 v0, 0
	v_mov_b32_e32 v1, 0
	s_wait_alu 0xf1ff
	s_delay_alu instid0(VALU_DEP_3)
	v_cmp_eq_u32_e64 s0, s0, v33
	s_and_saveexec_b32 s1, s0
	s_cbranch_execz .LBB1_151
; %bb.146:
	v_mov_b32_e32 v3, 0
	s_mov_b32 s2, exec_lo
	global_load_b64 v[12:13], v3, s[4:5] offset:24 scope:SCOPE_SYS
	s_wait_loadcnt 0x0
	global_inv scope:SCOPE_SYS
	s_clause 0x1
	global_load_b64 v[0:1], v3, s[4:5] offset:40
	global_load_b64 v[6:7], v3, s[4:5]
	s_wait_loadcnt 0x1
	v_and_b32_e32 v1, v1, v13
	v_and_b32_e32 v0, v0, v12
	s_delay_alu instid0(VALU_DEP_2) | instskip(NEXT) | instid1(VALU_DEP_2)
	v_mul_lo_u32 v1, 24, v1
	v_mul_lo_u32 v4, 0, v0
	v_mul_hi_u32 v10, 24, v0
	v_mul_lo_u32 v0, 24, v0
	s_delay_alu instid0(VALU_DEP_3) | instskip(SKIP_1) | instid1(VALU_DEP_2)
	v_add_nc_u32_e32 v1, v1, v4
	s_wait_loadcnt 0x0
	v_add_co_u32 v0, vcc_lo, v6, v0
	s_delay_alu instid0(VALU_DEP_2) | instskip(SKIP_1) | instid1(VALU_DEP_1)
	v_add_nc_u32_e32 v1, v1, v10
	s_wait_alu 0xfffd
	v_add_co_ci_u32_e64 v1, null, v7, v1, vcc_lo
	global_load_b64 v[10:11], v[0:1], off scope:SCOPE_SYS
	s_wait_loadcnt 0x0
	global_atomic_cmpswap_b64 v[0:1], v3, v[10:13], s[4:5] offset:24 th:TH_ATOMIC_RETURN scope:SCOPE_SYS
	s_wait_loadcnt 0x0
	global_inv scope:SCOPE_SYS
	v_cmpx_ne_u64_e64 v[0:1], v[12:13]
	s_cbranch_execz .LBB1_150
; %bb.147:
	s_mov_b32 s8, 0
.LBB1_148:                              ; =>This Inner Loop Header: Depth=1
	s_sleep 1
	s_clause 0x1
	global_load_b64 v[6:7], v3, s[4:5] offset:40
	global_load_b64 v[10:11], v3, s[4:5]
	v_dual_mov_b32 v13, v1 :: v_dual_mov_b32 v12, v0
	s_wait_loadcnt 0x1
	s_delay_alu instid0(VALU_DEP_1) | instskip(NEXT) | instid1(VALU_DEP_2)
	v_and_b32_e32 v0, v6, v12
	v_and_b32_e32 v4, v7, v13
	s_wait_loadcnt 0x0
	s_delay_alu instid0(VALU_DEP_2) | instskip(NEXT) | instid1(VALU_DEP_1)
	v_mad_co_u64_u32 v[0:1], null, v0, 24, v[10:11]
	v_mad_co_u64_u32 v[6:7], null, v4, 24, v[1:2]
	s_delay_alu instid0(VALU_DEP_1)
	v_mov_b32_e32 v1, v6
	global_load_b64 v[10:11], v[0:1], off scope:SCOPE_SYS
	s_wait_loadcnt 0x0
	global_atomic_cmpswap_b64 v[0:1], v3, v[10:13], s[4:5] offset:24 th:TH_ATOMIC_RETURN scope:SCOPE_SYS
	s_wait_loadcnt 0x0
	global_inv scope:SCOPE_SYS
	v_cmp_eq_u64_e32 vcc_lo, v[0:1], v[12:13]
	s_wait_alu 0xfffe
	s_or_b32 s8, vcc_lo, s8
	s_wait_alu 0xfffe
	s_and_not1_b32 exec_lo, exec_lo, s8
	s_cbranch_execnz .LBB1_148
; %bb.149:
	s_or_b32 exec_lo, exec_lo, s8
.LBB1_150:
	s_wait_alu 0xfffe
	s_or_b32 exec_lo, exec_lo, s2
.LBB1_151:
	s_wait_alu 0xfffe
	s_or_b32 exec_lo, exec_lo, s1
	v_readfirstlane_b32 s9, v1
	v_mov_b32_e32 v11, 0
	v_readfirstlane_b32 s8, v0
	s_mov_b32 s1, exec_lo
	s_clause 0x1
	global_load_b64 v[3:4], v11, s[4:5] offset:40
	global_load_b128 v[12:15], v11, s[4:5]
	s_wait_loadcnt 0x1
	s_wait_alu 0xf1ff
	v_and_b32_e32 v4, s9, v4
	v_and_b32_e32 v3, s8, v3
	s_delay_alu instid0(VALU_DEP_2) | instskip(NEXT) | instid1(VALU_DEP_2)
	v_mul_lo_u32 v0, 24, v4
	v_mul_lo_u32 v1, 0, v3
	v_mul_hi_u32 v6, 24, v3
	v_mul_lo_u32 v7, 24, v3
	s_delay_alu instid0(VALU_DEP_3) | instskip(NEXT) | instid1(VALU_DEP_1)
	v_add_nc_u32_e32 v0, v0, v1
	v_add_nc_u32_e32 v1, v0, v6
	s_wait_loadcnt 0x0
	s_delay_alu instid0(VALU_DEP_3) | instskip(SKIP_1) | instid1(VALU_DEP_2)
	v_add_co_u32 v0, vcc_lo, v12, v7
	s_wait_alu 0xfffd
	v_add_co_ci_u32_e64 v1, null, v13, v1, vcc_lo
	s_and_saveexec_b32 s2, s0
	s_cbranch_execz .LBB1_153
; %bb.152:
	s_wait_alu 0xfffe
	v_dual_mov_b32 v10, s1 :: v_dual_mov_b32 v19, 1
	v_dual_mov_b32 v18, 2 :: v_dual_mov_b32 v17, v11
	s_delay_alu instid0(VALU_DEP_2)
	v_mov_b32_e32 v16, v10
	global_store_b128 v[0:1], v[16:19], off offset:8
.LBB1_153:
	s_wait_alu 0xfffe
	s_or_b32 exec_lo, exec_lo, s2
	v_lshlrev_b64_e32 v[3:4], 12, v[3:4]
	s_mov_b32 s12, 0
	v_and_or_b32 v8, 0xffffff1f, v8, 32
	s_wait_alu 0xfffe
	s_mov_b32 s15, s12
	s_mov_b32 s13, s12
	;; [unrolled: 1-line block ×3, first 2 shown]
	v_add_co_u32 v3, vcc_lo, v14, v3
	s_wait_alu 0xfffd
	v_add_co_ci_u32_e64 v4, null, v15, v4, vcc_lo
	s_wait_alu 0xfffe
	v_dual_mov_b32 v10, v34 :: v_dual_mov_b32 v17, s15
	v_readfirstlane_b32 s10, v3
	v_add_co_u32 v3, vcc_lo, v3, v32
	v_readfirstlane_b32 s11, v4
	s_wait_alu 0xfffd
	v_add_co_ci_u32_e64 v4, null, 0, v4, vcc_lo
	v_dual_mov_b32 v16, s14 :: v_dual_mov_b32 v15, s13
	v_mov_b32_e32 v14, s12
	s_clause 0x3
	global_store_b128 v32, v[8:11], s[10:11]
	global_store_b128 v32, v[14:17], s[10:11] offset:16
	global_store_b128 v32, v[14:17], s[10:11] offset:32
	;; [unrolled: 1-line block ×3, first 2 shown]
	s_and_saveexec_b32 s1, s0
	s_cbranch_execz .LBB1_161
; %bb.154:
	v_mov_b32_e32 v14, 0
	s_mov_b32 s2, exec_lo
	s_clause 0x1
	global_load_b64 v[17:18], v14, s[4:5] offset:32 scope:SCOPE_SYS
	global_load_b64 v[6:7], v14, s[4:5] offset:40
	v_dual_mov_b32 v15, s8 :: v_dual_mov_b32 v16, s9
	s_wait_loadcnt 0x0
	v_and_b32_e32 v7, s9, v7
	v_and_b32_e32 v6, s8, v6
	s_delay_alu instid0(VALU_DEP_2) | instskip(NEXT) | instid1(VALU_DEP_2)
	v_mul_lo_u32 v7, 24, v7
	v_mul_lo_u32 v8, 0, v6
	v_mul_hi_u32 v9, 24, v6
	v_mul_lo_u32 v6, 24, v6
	s_delay_alu instid0(VALU_DEP_3) | instskip(NEXT) | instid1(VALU_DEP_2)
	v_add_nc_u32_e32 v7, v7, v8
	v_add_co_u32 v10, vcc_lo, v12, v6
	s_delay_alu instid0(VALU_DEP_2) | instskip(SKIP_1) | instid1(VALU_DEP_1)
	v_add_nc_u32_e32 v7, v7, v9
	s_wait_alu 0xfffd
	v_add_co_ci_u32_e64 v11, null, v13, v7, vcc_lo
	global_store_b64 v[10:11], v[17:18], off
	global_wb scope:SCOPE_SYS
	s_wait_storecnt 0x0
	global_atomic_cmpswap_b64 v[8:9], v14, v[15:18], s[4:5] offset:32 th:TH_ATOMIC_RETURN scope:SCOPE_SYS
	s_wait_loadcnt 0x0
	v_cmpx_ne_u64_e64 v[8:9], v[17:18]
	s_cbranch_execz .LBB1_157
; %bb.155:
	s_mov_b32 s10, 0
.LBB1_156:                              ; =>This Inner Loop Header: Depth=1
	v_dual_mov_b32 v6, s8 :: v_dual_mov_b32 v7, s9
	s_sleep 1
	global_store_b64 v[10:11], v[8:9], off
	global_wb scope:SCOPE_SYS
	s_wait_storecnt 0x0
	global_atomic_cmpswap_b64 v[6:7], v14, v[6:9], s[4:5] offset:32 th:TH_ATOMIC_RETURN scope:SCOPE_SYS
	s_wait_loadcnt 0x0
	v_cmp_eq_u64_e32 vcc_lo, v[6:7], v[8:9]
	v_dual_mov_b32 v9, v7 :: v_dual_mov_b32 v8, v6
	s_wait_alu 0xfffe
	s_or_b32 s10, vcc_lo, s10
	s_wait_alu 0xfffe
	s_and_not1_b32 exec_lo, exec_lo, s10
	s_cbranch_execnz .LBB1_156
.LBB1_157:
	s_wait_alu 0xfffe
	s_or_b32 exec_lo, exec_lo, s2
	v_mov_b32_e32 v9, 0
	s_mov_b32 s10, exec_lo
	s_mov_b32 s2, exec_lo
	s_wait_alu 0xfffe
	v_mbcnt_lo_u32_b32 v8, s10, 0
	global_load_b64 v[6:7], v9, s[4:5] offset:16
	v_cmpx_eq_u32_e32 0, v8
	s_cbranch_execz .LBB1_159
; %bb.158:
	s_bcnt1_i32_b32 s10, s10
	s_wait_alu 0xfffe
	v_mov_b32_e32 v8, s10
	global_wb scope:SCOPE_SYS
	s_wait_loadcnt 0x0
	s_wait_storecnt 0x0
	global_atomic_add_u64 v[6:7], v[8:9], off offset:8 scope:SCOPE_SYS
.LBB1_159:
	s_or_b32 exec_lo, exec_lo, s2
	s_wait_loadcnt 0x0
	global_load_b64 v[8:9], v[6:7], off offset:16
	s_wait_loadcnt 0x0
	v_cmp_eq_u64_e32 vcc_lo, 0, v[8:9]
	s_cbranch_vccnz .LBB1_161
; %bb.160:
	global_load_b32 v6, v[6:7], off offset:24
	v_mov_b32_e32 v7, 0
	s_wait_loadcnt 0x0
	v_readfirstlane_b32 s2, v6
	global_wb scope:SCOPE_SYS
	s_wait_storecnt 0x0
	global_store_b64 v[8:9], v[6:7], off scope:SCOPE_SYS
	s_and_b32 m0, s2, 0xffffff
	s_sendmsg sendmsg(MSG_INTERRUPT)
.LBB1_161:
	s_wait_alu 0xfffe
	s_or_b32 exec_lo, exec_lo, s1
	s_branch .LBB1_165
.LBB1_162:                              ;   in Loop: Header=BB1_165 Depth=1
	s_wait_alu 0xfffe
	s_or_b32 exec_lo, exec_lo, s1
	s_delay_alu instid0(VALU_DEP_1)
	v_readfirstlane_b32 s1, v6
	s_cmp_eq_u32 s1, 0
	s_cbranch_scc1 .LBB1_164
; %bb.163:                              ;   in Loop: Header=BB1_165 Depth=1
	s_sleep 1
	s_cbranch_execnz .LBB1_165
	s_branch .LBB1_167
.LBB1_164:
	s_branch .LBB1_167
.LBB1_165:                              ; =>This Inner Loop Header: Depth=1
	v_mov_b32_e32 v6, 1
	s_and_saveexec_b32 s1, s0
	s_cbranch_execz .LBB1_162
; %bb.166:                              ;   in Loop: Header=BB1_165 Depth=1
	global_load_b32 v6, v[0:1], off offset:20 scope:SCOPE_SYS
	s_wait_loadcnt 0x0
	global_inv scope:SCOPE_SYS
	v_and_b32_e32 v6, 1, v6
	s_branch .LBB1_162
.LBB1_167:
	global_load_b64 v[6:7], v[3:4], off
	s_and_saveexec_b32 s2, s0
	s_cbranch_execz .LBB1_171
; %bb.168:
	v_mov_b32_e32 v3, 0
	s_clause 0x2
	global_load_b64 v[0:1], v3, s[4:5] offset:40
	global_load_b64 v[12:13], v3, s[4:5] offset:24 scope:SCOPE_SYS
	global_load_b64 v[8:9], v3, s[4:5]
	s_wait_loadcnt 0x2
	v_readfirstlane_b32 s10, v0
	v_readfirstlane_b32 s11, v1
	s_add_nc_u64 s[0:1], s[10:11], 1
	s_wait_alu 0xfffe
	s_add_nc_u64 s[8:9], s[0:1], s[8:9]
	s_wait_alu 0xfffe
	s_cmp_eq_u64 s[8:9], 0
	s_cselect_b32 s1, s1, s9
	s_cselect_b32 s0, s0, s8
	s_wait_alu 0xfffe
	v_mov_b32_e32 v11, s1
	s_and_b64 s[8:9], s[0:1], s[10:11]
	v_mov_b32_e32 v10, s0
	s_wait_alu 0xfffe
	s_mul_u64 s[8:9], s[8:9], 24
	s_wait_loadcnt 0x0
	s_wait_alu 0xfffe
	v_add_co_u32 v0, vcc_lo, v8, s8
	s_wait_alu 0xfffd
	v_add_co_ci_u32_e64 v1, null, s9, v9, vcc_lo
	global_store_b64 v[0:1], v[12:13], off
	global_wb scope:SCOPE_SYS
	s_wait_storecnt 0x0
	global_atomic_cmpswap_b64 v[10:11], v3, v[10:13], s[4:5] offset:24 th:TH_ATOMIC_RETURN scope:SCOPE_SYS
	s_wait_loadcnt 0x0
	v_cmp_ne_u64_e32 vcc_lo, v[10:11], v[12:13]
	s_and_b32 exec_lo, exec_lo, vcc_lo
	s_cbranch_execz .LBB1_171
; %bb.169:
	s_mov_b32 s8, 0
.LBB1_170:                              ; =>This Inner Loop Header: Depth=1
	v_dual_mov_b32 v8, s0 :: v_dual_mov_b32 v9, s1
	s_sleep 1
	global_store_b64 v[0:1], v[10:11], off
	global_wb scope:SCOPE_SYS
	s_wait_storecnt 0x0
	global_atomic_cmpswap_b64 v[8:9], v3, v[8:11], s[4:5] offset:24 th:TH_ATOMIC_RETURN scope:SCOPE_SYS
	s_wait_loadcnt 0x0
	v_cmp_eq_u64_e32 vcc_lo, v[8:9], v[10:11]
	v_dual_mov_b32 v11, v9 :: v_dual_mov_b32 v10, v8
	s_wait_alu 0xfffe
	s_or_b32 s8, vcc_lo, s8
	s_wait_alu 0xfffe
	s_and_not1_b32 exec_lo, exec_lo, s8
	s_cbranch_execnz .LBB1_170
.LBB1_171:
	s_wait_alu 0xfffe
	s_or_b32 exec_lo, exec_lo, s2
	v_readfirstlane_b32 s0, v33
	v_mov_b32_e32 v0, 0
	v_mov_b32_e32 v1, 0
	s_wait_alu 0xf1ff
	s_delay_alu instid0(VALU_DEP_3)
	v_cmp_eq_u32_e64 s0, s0, v33
	s_and_saveexec_b32 s1, s0
	s_cbranch_execz .LBB1_177
; %bb.172:
	v_mov_b32_e32 v3, 0
	s_mov_b32 s2, exec_lo
	global_load_b64 v[10:11], v3, s[4:5] offset:24 scope:SCOPE_SYS
	s_wait_loadcnt 0x0
	global_inv scope:SCOPE_SYS
	s_clause 0x1
	global_load_b64 v[0:1], v3, s[4:5] offset:40
	global_load_b64 v[8:9], v3, s[4:5]
	s_wait_loadcnt 0x1
	v_and_b32_e32 v1, v1, v11
	v_and_b32_e32 v0, v0, v10
	s_delay_alu instid0(VALU_DEP_2) | instskip(NEXT) | instid1(VALU_DEP_2)
	v_mul_lo_u32 v1, 24, v1
	v_mul_lo_u32 v4, 0, v0
	v_mul_hi_u32 v12, 24, v0
	v_mul_lo_u32 v0, 24, v0
	s_delay_alu instid0(VALU_DEP_3) | instskip(SKIP_1) | instid1(VALU_DEP_2)
	v_add_nc_u32_e32 v1, v1, v4
	s_wait_loadcnt 0x0
	v_add_co_u32 v0, vcc_lo, v8, v0
	s_delay_alu instid0(VALU_DEP_2) | instskip(SKIP_1) | instid1(VALU_DEP_1)
	v_add_nc_u32_e32 v1, v1, v12
	s_wait_alu 0xfffd
	v_add_co_ci_u32_e64 v1, null, v9, v1, vcc_lo
	global_load_b64 v[8:9], v[0:1], off scope:SCOPE_SYS
	s_wait_loadcnt 0x0
	global_atomic_cmpswap_b64 v[0:1], v3, v[8:11], s[4:5] offset:24 th:TH_ATOMIC_RETURN scope:SCOPE_SYS
	s_wait_loadcnt 0x0
	global_inv scope:SCOPE_SYS
	v_cmpx_ne_u64_e64 v[0:1], v[10:11]
	s_cbranch_execz .LBB1_176
; %bb.173:
	s_mov_b32 s8, 0
.LBB1_174:                              ; =>This Inner Loop Header: Depth=1
	s_sleep 1
	s_clause 0x1
	global_load_b64 v[8:9], v3, s[4:5] offset:40
	global_load_b64 v[12:13], v3, s[4:5]
	v_dual_mov_b32 v11, v1 :: v_dual_mov_b32 v10, v0
	s_wait_loadcnt 0x1
	s_delay_alu instid0(VALU_DEP_1) | instskip(NEXT) | instid1(VALU_DEP_2)
	v_and_b32_e32 v0, v8, v10
	v_and_b32_e32 v4, v9, v11
	s_wait_loadcnt 0x0
	s_delay_alu instid0(VALU_DEP_2) | instskip(NEXT) | instid1(VALU_DEP_1)
	v_mad_co_u64_u32 v[0:1], null, v0, 24, v[12:13]
	v_mad_co_u64_u32 v[8:9], null, v4, 24, v[1:2]
	s_delay_alu instid0(VALU_DEP_1)
	v_mov_b32_e32 v1, v8
	global_load_b64 v[8:9], v[0:1], off scope:SCOPE_SYS
	s_wait_loadcnt 0x0
	global_atomic_cmpswap_b64 v[0:1], v3, v[8:11], s[4:5] offset:24 th:TH_ATOMIC_RETURN scope:SCOPE_SYS
	s_wait_loadcnt 0x0
	global_inv scope:SCOPE_SYS
	v_cmp_eq_u64_e32 vcc_lo, v[0:1], v[10:11]
	s_wait_alu 0xfffe
	s_or_b32 s8, vcc_lo, s8
	s_wait_alu 0xfffe
	s_and_not1_b32 exec_lo, exec_lo, s8
	s_cbranch_execnz .LBB1_174
; %bb.175:
	s_or_b32 exec_lo, exec_lo, s8
.LBB1_176:
	s_wait_alu 0xfffe
	s_or_b32 exec_lo, exec_lo, s2
.LBB1_177:
	s_wait_alu 0xfffe
	s_or_b32 exec_lo, exec_lo, s1
	v_readfirstlane_b32 s9, v1
	v_mov_b32_e32 v9, 0
	v_readfirstlane_b32 s8, v0
	s_mov_b32 s1, exec_lo
	s_clause 0x1
	global_load_b64 v[3:4], v9, s[4:5] offset:40
	global_load_b128 v[10:13], v9, s[4:5]
	s_wait_loadcnt 0x1
	s_wait_alu 0xf1ff
	v_and_b32_e32 v4, s9, v4
	v_and_b32_e32 v3, s8, v3
	s_delay_alu instid0(VALU_DEP_2) | instskip(NEXT) | instid1(VALU_DEP_2)
	v_mul_lo_u32 v0, 24, v4
	v_mul_lo_u32 v1, 0, v3
	v_mul_hi_u32 v8, 24, v3
	v_mul_lo_u32 v14, 24, v3
	s_delay_alu instid0(VALU_DEP_3) | instskip(NEXT) | instid1(VALU_DEP_1)
	v_add_nc_u32_e32 v0, v0, v1
	v_add_nc_u32_e32 v1, v0, v8
	s_wait_loadcnt 0x0
	s_delay_alu instid0(VALU_DEP_3) | instskip(SKIP_1) | instid1(VALU_DEP_2)
	v_add_co_u32 v0, vcc_lo, v10, v14
	s_wait_alu 0xfffd
	v_add_co_ci_u32_e64 v1, null, v11, v1, vcc_lo
	s_and_saveexec_b32 s2, s0
	s_cbranch_execz .LBB1_179
; %bb.178:
	s_wait_alu 0xfffe
	v_dual_mov_b32 v8, s1 :: v_dual_mov_b32 v17, 1
	v_dual_mov_b32 v16, 2 :: v_dual_mov_b32 v15, v9
	s_delay_alu instid0(VALU_DEP_2)
	v_mov_b32_e32 v14, v8
	global_store_b128 v[0:1], v[14:17], off offset:8
.LBB1_179:
	s_wait_alu 0xfffe
	s_or_b32 exec_lo, exec_lo, s2
	v_lshlrev_b64_e32 v[3:4], 12, v[3:4]
	s_mov_b32 s12, 0
	v_and_or_b32 v6, 0xffffff1f, v6, 32
	s_wait_alu 0xfffe
	s_mov_b32 s13, s12
	s_mov_b32 s14, s12
	;; [unrolled: 1-line block ×3, first 2 shown]
	v_add_co_u32 v3, vcc_lo, v12, v3
	s_wait_alu 0xfffd
	v_add_co_ci_u32_e64 v4, null, v13, v4, vcc_lo
	v_mov_b32_e32 v8, s6
	s_delay_alu instid0(VALU_DEP_3) | instskip(SKIP_1) | instid1(VALU_DEP_4)
	v_readfirstlane_b32 s10, v3
	v_add_co_u32 v3, vcc_lo, v3, v32
	v_readfirstlane_b32 s11, v4
	s_wait_alu 0xfffe
	v_dual_mov_b32 v12, s12 :: v_dual_mov_b32 v15, s15
	s_wait_alu 0xfffd
	v_add_co_ci_u32_e64 v4, null, 0, v4, vcc_lo
	v_dual_mov_b32 v13, s13 :: v_dual_mov_b32 v14, s14
	s_clause 0x3
	global_store_b128 v32, v[6:9], s[10:11]
	global_store_b128 v32, v[12:15], s[10:11] offset:16
	global_store_b128 v32, v[12:15], s[10:11] offset:32
	;; [unrolled: 1-line block ×3, first 2 shown]
	s_and_saveexec_b32 s1, s0
	s_cbranch_execz .LBB1_187
; %bb.180:
	v_mov_b32_e32 v12, 0
	s_mov_b32 s2, exec_lo
	s_clause 0x1
	global_load_b64 v[15:16], v12, s[4:5] offset:32 scope:SCOPE_SYS
	global_load_b64 v[6:7], v12, s[4:5] offset:40
	v_dual_mov_b32 v13, s8 :: v_dual_mov_b32 v14, s9
	s_wait_loadcnt 0x0
	v_and_b32_e32 v7, s9, v7
	v_and_b32_e32 v6, s8, v6
	s_delay_alu instid0(VALU_DEP_2) | instskip(NEXT) | instid1(VALU_DEP_2)
	v_mul_lo_u32 v7, 24, v7
	v_mul_lo_u32 v8, 0, v6
	v_mul_hi_u32 v9, 24, v6
	v_mul_lo_u32 v6, 24, v6
	s_delay_alu instid0(VALU_DEP_3) | instskip(NEXT) | instid1(VALU_DEP_2)
	v_add_nc_u32_e32 v7, v7, v8
	v_add_co_u32 v10, vcc_lo, v10, v6
	s_delay_alu instid0(VALU_DEP_2) | instskip(SKIP_1) | instid1(VALU_DEP_1)
	v_add_nc_u32_e32 v7, v7, v9
	s_wait_alu 0xfffd
	v_add_co_ci_u32_e64 v11, null, v11, v7, vcc_lo
	global_store_b64 v[10:11], v[15:16], off
	global_wb scope:SCOPE_SYS
	s_wait_storecnt 0x0
	global_atomic_cmpswap_b64 v[8:9], v12, v[13:16], s[4:5] offset:32 th:TH_ATOMIC_RETURN scope:SCOPE_SYS
	s_wait_loadcnt 0x0
	v_cmpx_ne_u64_e64 v[8:9], v[15:16]
	s_cbranch_execz .LBB1_183
; %bb.181:
	s_mov_b32 s6, 0
.LBB1_182:                              ; =>This Inner Loop Header: Depth=1
	v_dual_mov_b32 v6, s8 :: v_dual_mov_b32 v7, s9
	s_sleep 1
	global_store_b64 v[10:11], v[8:9], off
	global_wb scope:SCOPE_SYS
	s_wait_storecnt 0x0
	global_atomic_cmpswap_b64 v[6:7], v12, v[6:9], s[4:5] offset:32 th:TH_ATOMIC_RETURN scope:SCOPE_SYS
	s_wait_loadcnt 0x0
	v_cmp_eq_u64_e32 vcc_lo, v[6:7], v[8:9]
	v_dual_mov_b32 v9, v7 :: v_dual_mov_b32 v8, v6
	s_wait_alu 0xfffe
	s_or_b32 s6, vcc_lo, s6
	s_wait_alu 0xfffe
	s_and_not1_b32 exec_lo, exec_lo, s6
	s_cbranch_execnz .LBB1_182
.LBB1_183:
	s_wait_alu 0xfffe
	s_or_b32 exec_lo, exec_lo, s2
	v_mov_b32_e32 v9, 0
	s_mov_b32 s6, exec_lo
	s_mov_b32 s2, exec_lo
	s_wait_alu 0xfffe
	v_mbcnt_lo_u32_b32 v8, s6, 0
	global_load_b64 v[6:7], v9, s[4:5] offset:16
	v_cmpx_eq_u32_e32 0, v8
	s_cbranch_execz .LBB1_185
; %bb.184:
	s_bcnt1_i32_b32 s6, s6
	s_wait_alu 0xfffe
	v_mov_b32_e32 v8, s6
	global_wb scope:SCOPE_SYS
	s_wait_loadcnt 0x0
	s_wait_storecnt 0x0
	global_atomic_add_u64 v[6:7], v[8:9], off offset:8 scope:SCOPE_SYS
.LBB1_185:
	s_or_b32 exec_lo, exec_lo, s2
	s_wait_loadcnt 0x0
	global_load_b64 v[8:9], v[6:7], off offset:16
	s_wait_loadcnt 0x0
	v_cmp_eq_u64_e32 vcc_lo, 0, v[8:9]
	s_cbranch_vccnz .LBB1_187
; %bb.186:
	global_load_b32 v6, v[6:7], off offset:24
	v_mov_b32_e32 v7, 0
	s_wait_loadcnt 0x0
	v_readfirstlane_b32 s2, v6
	global_wb scope:SCOPE_SYS
	s_wait_storecnt 0x0
	global_store_b64 v[8:9], v[6:7], off scope:SCOPE_SYS
	s_and_b32 m0, s2, 0xffffff
	s_sendmsg sendmsg(MSG_INTERRUPT)
.LBB1_187:
	s_wait_alu 0xfffe
	s_or_b32 exec_lo, exec_lo, s1
	s_branch .LBB1_191
.LBB1_188:                              ;   in Loop: Header=BB1_191 Depth=1
	s_wait_alu 0xfffe
	s_or_b32 exec_lo, exec_lo, s1
	s_delay_alu instid0(VALU_DEP_1)
	v_readfirstlane_b32 s1, v6
	s_cmp_eq_u32 s1, 0
	s_cbranch_scc1 .LBB1_190
; %bb.189:                              ;   in Loop: Header=BB1_191 Depth=1
	s_sleep 1
	s_cbranch_execnz .LBB1_191
	s_branch .LBB1_193
.LBB1_190:
	s_branch .LBB1_193
.LBB1_191:                              ; =>This Inner Loop Header: Depth=1
	v_mov_b32_e32 v6, 1
	s_and_saveexec_b32 s1, s0
	s_cbranch_execz .LBB1_188
; %bb.192:                              ;   in Loop: Header=BB1_191 Depth=1
	global_load_b32 v6, v[0:1], off offset:20 scope:SCOPE_SYS
	s_wait_loadcnt 0x0
	global_inv scope:SCOPE_SYS
	v_and_b32_e32 v6, 1, v6
	s_branch .LBB1_188
.LBB1_193:
	global_load_b64 v[3:4], v[3:4], off
	s_and_saveexec_b32 s2, s0
	s_cbranch_execz .LBB1_197
; %bb.194:
	v_mov_b32_e32 v10, 0
	s_clause 0x2
	global_load_b64 v[0:1], v10, s[4:5] offset:40
	global_load_b64 v[13:14], v10, s[4:5] offset:24 scope:SCOPE_SYS
	global_load_b64 v[6:7], v10, s[4:5]
	s_wait_loadcnt 0x2
	v_readfirstlane_b32 s10, v0
	v_readfirstlane_b32 s11, v1
	s_add_nc_u64 s[0:1], s[10:11], 1
	s_wait_alu 0xfffe
	s_add_nc_u64 s[8:9], s[0:1], s[8:9]
	s_wait_alu 0xfffe
	s_cmp_eq_u64 s[8:9], 0
	s_cselect_b32 s1, s1, s9
	s_cselect_b32 s0, s0, s8
	s_wait_alu 0xfffe
	v_mov_b32_e32 v12, s1
	s_and_b64 s[8:9], s[0:1], s[10:11]
	v_mov_b32_e32 v11, s0
	s_wait_alu 0xfffe
	s_mul_u64 s[8:9], s[8:9], 24
	s_wait_loadcnt 0x0
	s_wait_alu 0xfffe
	v_add_co_u32 v0, vcc_lo, v6, s8
	s_wait_alu 0xfffd
	v_add_co_ci_u32_e64 v1, null, s9, v7, vcc_lo
	global_store_b64 v[0:1], v[13:14], off
	global_wb scope:SCOPE_SYS
	s_wait_storecnt 0x0
	global_atomic_cmpswap_b64 v[8:9], v10, v[11:14], s[4:5] offset:24 th:TH_ATOMIC_RETURN scope:SCOPE_SYS
	s_wait_loadcnt 0x0
	v_cmp_ne_u64_e32 vcc_lo, v[8:9], v[13:14]
	s_and_b32 exec_lo, exec_lo, vcc_lo
	s_cbranch_execz .LBB1_197
; %bb.195:
	s_mov_b32 s6, 0
.LBB1_196:                              ; =>This Inner Loop Header: Depth=1
	v_dual_mov_b32 v6, s0 :: v_dual_mov_b32 v7, s1
	s_sleep 1
	global_store_b64 v[0:1], v[8:9], off
	global_wb scope:SCOPE_SYS
	s_wait_storecnt 0x0
	global_atomic_cmpswap_b64 v[6:7], v10, v[6:9], s[4:5] offset:24 th:TH_ATOMIC_RETURN scope:SCOPE_SYS
	s_wait_loadcnt 0x0
	v_cmp_eq_u64_e32 vcc_lo, v[6:7], v[8:9]
	v_dual_mov_b32 v9, v7 :: v_dual_mov_b32 v8, v6
	s_wait_alu 0xfffe
	s_or_b32 s6, vcc_lo, s6
	s_wait_alu 0xfffe
	s_and_not1_b32 exec_lo, exec_lo, s6
	s_cbranch_execnz .LBB1_196
.LBB1_197:
	s_wait_alu 0xfffe
	s_or_b32 exec_lo, exec_lo, s2
	v_readfirstlane_b32 s0, v33
	v_mov_b32_e32 v0, 0
	v_mov_b32_e32 v1, 0
	s_wait_alu 0xf1ff
	s_delay_alu instid0(VALU_DEP_3)
	v_cmp_eq_u32_e64 s0, s0, v33
	s_and_saveexec_b32 s1, s0
	s_cbranch_execz .LBB1_203
; %bb.198:
	v_mov_b32_e32 v6, 0
	s_mov_b32 s2, exec_lo
	global_load_b64 v[9:10], v6, s[4:5] offset:24 scope:SCOPE_SYS
	s_wait_loadcnt 0x0
	global_inv scope:SCOPE_SYS
	s_clause 0x1
	global_load_b64 v[0:1], v6, s[4:5] offset:40
	global_load_b64 v[7:8], v6, s[4:5]
	s_wait_loadcnt 0x1
	v_and_b32_e32 v1, v1, v10
	v_and_b32_e32 v0, v0, v9
	s_delay_alu instid0(VALU_DEP_2) | instskip(NEXT) | instid1(VALU_DEP_2)
	v_mul_lo_u32 v1, 24, v1
	v_mul_lo_u32 v11, 0, v0
	v_mul_hi_u32 v12, 24, v0
	v_mul_lo_u32 v0, 24, v0
	s_delay_alu instid0(VALU_DEP_3) | instskip(SKIP_1) | instid1(VALU_DEP_2)
	v_add_nc_u32_e32 v1, v1, v11
	s_wait_loadcnt 0x0
	v_add_co_u32 v0, vcc_lo, v7, v0
	s_delay_alu instid0(VALU_DEP_2) | instskip(SKIP_1) | instid1(VALU_DEP_1)
	v_add_nc_u32_e32 v1, v1, v12
	s_wait_alu 0xfffd
	v_add_co_ci_u32_e64 v1, null, v8, v1, vcc_lo
	global_load_b64 v[7:8], v[0:1], off scope:SCOPE_SYS
	s_wait_loadcnt 0x0
	global_atomic_cmpswap_b64 v[0:1], v6, v[7:10], s[4:5] offset:24 th:TH_ATOMIC_RETURN scope:SCOPE_SYS
	s_wait_loadcnt 0x0
	global_inv scope:SCOPE_SYS
	v_cmpx_ne_u64_e64 v[0:1], v[9:10]
	s_cbranch_execz .LBB1_202
; %bb.199:
	s_mov_b32 s6, 0
.LBB1_200:                              ; =>This Inner Loop Header: Depth=1
	s_sleep 1
	s_clause 0x1
	global_load_b64 v[7:8], v6, s[4:5] offset:40
	global_load_b64 v[11:12], v6, s[4:5]
	v_dual_mov_b32 v10, v1 :: v_dual_mov_b32 v9, v0
	s_wait_loadcnt 0x1
	s_delay_alu instid0(VALU_DEP_1) | instskip(NEXT) | instid1(VALU_DEP_2)
	v_and_b32_e32 v0, v7, v9
	v_and_b32_e32 v7, v8, v10
	s_wait_loadcnt 0x0
	s_delay_alu instid0(VALU_DEP_2) | instskip(NEXT) | instid1(VALU_DEP_1)
	v_mad_co_u64_u32 v[0:1], null, v0, 24, v[11:12]
	v_mad_co_u64_u32 v[7:8], null, v7, 24, v[1:2]
	s_delay_alu instid0(VALU_DEP_1)
	v_mov_b32_e32 v1, v7
	global_load_b64 v[7:8], v[0:1], off scope:SCOPE_SYS
	s_wait_loadcnt 0x0
	global_atomic_cmpswap_b64 v[0:1], v6, v[7:10], s[4:5] offset:24 th:TH_ATOMIC_RETURN scope:SCOPE_SYS
	s_wait_loadcnt 0x0
	global_inv scope:SCOPE_SYS
	v_cmp_eq_u64_e32 vcc_lo, v[0:1], v[9:10]
	s_wait_alu 0xfffe
	s_or_b32 s6, vcc_lo, s6
	s_wait_alu 0xfffe
	s_and_not1_b32 exec_lo, exec_lo, s6
	s_cbranch_execnz .LBB1_200
; %bb.201:
	s_or_b32 exec_lo, exec_lo, s6
.LBB1_202:
	s_wait_alu 0xfffe
	s_or_b32 exec_lo, exec_lo, s2
.LBB1_203:
	s_wait_alu 0xfffe
	s_or_b32 exec_lo, exec_lo, s1
	v_readfirstlane_b32 s8, v0
	v_mov_b32_e32 v6, 0
	v_readfirstlane_b32 s9, v1
	s_mov_b32 s1, exec_lo
	s_clause 0x1
	global_load_b64 v[11:12], v6, s[4:5] offset:40
	global_load_b128 v[7:10], v6, s[4:5]
	s_wait_loadcnt 0x1
	s_wait_alu 0xf1ff
	v_and_b32_e32 v12, s9, v12
	v_and_b32_e32 v11, s8, v11
	s_delay_alu instid0(VALU_DEP_2) | instskip(NEXT) | instid1(VALU_DEP_2)
	v_mul_lo_u32 v0, 24, v12
	v_mul_lo_u32 v1, 0, v11
	v_mul_hi_u32 v13, 24, v11
	v_mul_lo_u32 v14, 24, v11
	s_delay_alu instid0(VALU_DEP_3) | instskip(NEXT) | instid1(VALU_DEP_1)
	v_add_nc_u32_e32 v0, v0, v1
	v_add_nc_u32_e32 v1, v0, v13
	s_wait_loadcnt 0x0
	s_delay_alu instid0(VALU_DEP_3) | instskip(SKIP_1) | instid1(VALU_DEP_2)
	v_add_co_u32 v0, vcc_lo, v7, v14
	s_wait_alu 0xfffd
	v_add_co_ci_u32_e64 v1, null, v8, v1, vcc_lo
	s_and_saveexec_b32 s2, s0
	s_cbranch_execz .LBB1_205
; %bb.204:
	s_wait_alu 0xfffe
	v_dual_mov_b32 v13, s1 :: v_dual_mov_b32 v14, v6
	v_dual_mov_b32 v15, 2 :: v_dual_mov_b32 v16, 1
	global_store_b128 v[0:1], v[13:16], off offset:8
.LBB1_205:
	s_wait_alu 0xfffe
	s_or_b32 exec_lo, exec_lo, s2
	v_lshlrev_b64_e32 v[11:12], 12, v[11:12]
	s_mov_b32 s12, 0
	v_and_or_b32 v3, 0xffffff1f, v3, 32
	s_wait_alu 0xfffe
	s_mov_b32 s13, s12
	s_mov_b32 s14, s12
	;; [unrolled: 1-line block ×3, first 2 shown]
	v_add_co_u32 v9, vcc_lo, v9, v11
	s_wait_alu 0xfffd
	v_add_co_ci_u32_e64 v10, null, v10, v12, vcc_lo
	s_wait_alu 0xfffe
	v_dual_mov_b32 v11, s12 :: v_dual_mov_b32 v12, s13
	v_readfirstlane_b32 s10, v9
	v_add_co_u32 v9, vcc_lo, v9, v32
	v_readfirstlane_b32 s11, v10
	s_wait_alu 0xfffd
	v_add_co_ci_u32_e64 v10, null, 0, v10, vcc_lo
	v_dual_mov_b32 v13, s14 :: v_dual_mov_b32 v14, s15
	s_clause 0x3
	global_store_b128 v32, v[3:6], s[10:11]
	global_store_b128 v32, v[11:14], s[10:11] offset:16
	global_store_b128 v32, v[11:14], s[10:11] offset:32
	;; [unrolled: 1-line block ×3, first 2 shown]
	s_and_saveexec_b32 s1, s0
	s_cbranch_execz .LBB1_213
; %bb.206:
	v_mov_b32_e32 v11, 0
	s_mov_b32 s2, exec_lo
	s_clause 0x1
	global_load_b64 v[14:15], v11, s[4:5] offset:32 scope:SCOPE_SYS
	global_load_b64 v[3:4], v11, s[4:5] offset:40
	v_dual_mov_b32 v12, s8 :: v_dual_mov_b32 v13, s9
	s_wait_loadcnt 0x0
	v_and_b32_e32 v4, s9, v4
	v_and_b32_e32 v3, s8, v3
	s_delay_alu instid0(VALU_DEP_2) | instskip(NEXT) | instid1(VALU_DEP_2)
	v_mul_lo_u32 v4, 24, v4
	v_mul_lo_u32 v5, 0, v3
	v_mul_hi_u32 v6, 24, v3
	v_mul_lo_u32 v3, 24, v3
	s_delay_alu instid0(VALU_DEP_3) | instskip(NEXT) | instid1(VALU_DEP_2)
	v_add_nc_u32_e32 v4, v4, v5
	v_add_co_u32 v7, vcc_lo, v7, v3
	s_delay_alu instid0(VALU_DEP_2) | instskip(SKIP_1) | instid1(VALU_DEP_1)
	v_add_nc_u32_e32 v4, v4, v6
	s_wait_alu 0xfffd
	v_add_co_ci_u32_e64 v8, null, v8, v4, vcc_lo
	global_store_b64 v[7:8], v[14:15], off
	global_wb scope:SCOPE_SYS
	s_wait_storecnt 0x0
	global_atomic_cmpswap_b64 v[5:6], v11, v[12:15], s[4:5] offset:32 th:TH_ATOMIC_RETURN scope:SCOPE_SYS
	s_wait_loadcnt 0x0
	v_cmpx_ne_u64_e64 v[5:6], v[14:15]
	s_cbranch_execz .LBB1_209
; %bb.207:
	s_mov_b32 s6, 0
.LBB1_208:                              ; =>This Inner Loop Header: Depth=1
	v_dual_mov_b32 v3, s8 :: v_dual_mov_b32 v4, s9
	s_sleep 1
	global_store_b64 v[7:8], v[5:6], off
	global_wb scope:SCOPE_SYS
	s_wait_storecnt 0x0
	global_atomic_cmpswap_b64 v[3:4], v11, v[3:6], s[4:5] offset:32 th:TH_ATOMIC_RETURN scope:SCOPE_SYS
	s_wait_loadcnt 0x0
	v_cmp_eq_u64_e32 vcc_lo, v[3:4], v[5:6]
	v_dual_mov_b32 v6, v4 :: v_dual_mov_b32 v5, v3
	s_wait_alu 0xfffe
	s_or_b32 s6, vcc_lo, s6
	s_wait_alu 0xfffe
	s_and_not1_b32 exec_lo, exec_lo, s6
	s_cbranch_execnz .LBB1_208
.LBB1_209:
	s_wait_alu 0xfffe
	s_or_b32 exec_lo, exec_lo, s2
	v_mov_b32_e32 v6, 0
	s_mov_b32 s6, exec_lo
	s_mov_b32 s2, exec_lo
	s_wait_alu 0xfffe
	v_mbcnt_lo_u32_b32 v5, s6, 0
	global_load_b64 v[3:4], v6, s[4:5] offset:16
	v_cmpx_eq_u32_e32 0, v5
	s_cbranch_execz .LBB1_211
; %bb.210:
	s_bcnt1_i32_b32 s6, s6
	s_wait_alu 0xfffe
	v_mov_b32_e32 v5, s6
	global_wb scope:SCOPE_SYS
	s_wait_loadcnt 0x0
	s_wait_storecnt 0x0
	global_atomic_add_u64 v[3:4], v[5:6], off offset:8 scope:SCOPE_SYS
.LBB1_211:
	s_or_b32 exec_lo, exec_lo, s2
	s_wait_loadcnt 0x0
	global_load_b64 v[5:6], v[3:4], off offset:16
	s_wait_loadcnt 0x0
	v_cmp_eq_u64_e32 vcc_lo, 0, v[5:6]
	s_cbranch_vccnz .LBB1_213
; %bb.212:
	global_load_b32 v3, v[3:4], off offset:24
	v_mov_b32_e32 v4, 0
	s_wait_loadcnt 0x0
	v_readfirstlane_b32 s2, v3
	global_wb scope:SCOPE_SYS
	s_wait_storecnt 0x0
	global_store_b64 v[5:6], v[3:4], off scope:SCOPE_SYS
	s_and_b32 m0, s2, 0xffffff
	s_sendmsg sendmsg(MSG_INTERRUPT)
.LBB1_213:
	s_wait_alu 0xfffe
	s_or_b32 exec_lo, exec_lo, s1
	s_branch .LBB1_217
.LBB1_214:                              ;   in Loop: Header=BB1_217 Depth=1
	s_wait_alu 0xfffe
	s_or_b32 exec_lo, exec_lo, s1
	s_delay_alu instid0(VALU_DEP_1)
	v_readfirstlane_b32 s1, v3
	s_cmp_eq_u32 s1, 0
	s_cbranch_scc1 .LBB1_216
; %bb.215:                              ;   in Loop: Header=BB1_217 Depth=1
	s_sleep 1
	s_cbranch_execnz .LBB1_217
	s_branch .LBB1_219
.LBB1_216:
	s_branch .LBB1_219
.LBB1_217:                              ; =>This Inner Loop Header: Depth=1
	v_mov_b32_e32 v3, 1
	s_and_saveexec_b32 s1, s0
	s_cbranch_execz .LBB1_214
; %bb.218:                              ;   in Loop: Header=BB1_217 Depth=1
	global_load_b32 v3, v[0:1], off offset:20 scope:SCOPE_SYS
	s_wait_loadcnt 0x0
	global_inv scope:SCOPE_SYS
	v_and_b32_e32 v3, 1, v3
	s_branch .LBB1_214
.LBB1_219:
	global_load_b64 v[3:4], v[9:10], off
	s_and_saveexec_b32 s2, s0
	s_cbranch_execz .LBB1_223
; %bb.220:
	v_mov_b32_e32 v9, 0
	s_clause 0x2
	global_load_b64 v[0:1], v9, s[4:5] offset:40
	global_load_b64 v[12:13], v9, s[4:5] offset:24 scope:SCOPE_SYS
	global_load_b64 v[5:6], v9, s[4:5]
	s_wait_loadcnt 0x2
	v_readfirstlane_b32 s10, v0
	v_readfirstlane_b32 s11, v1
	s_add_nc_u64 s[0:1], s[10:11], 1
	s_wait_alu 0xfffe
	s_add_nc_u64 s[8:9], s[0:1], s[8:9]
	s_wait_alu 0xfffe
	s_cmp_eq_u64 s[8:9], 0
	s_cselect_b32 s1, s1, s9
	s_cselect_b32 s0, s0, s8
	s_wait_alu 0xfffe
	v_mov_b32_e32 v11, s1
	s_and_b64 s[8:9], s[0:1], s[10:11]
	v_mov_b32_e32 v10, s0
	s_wait_alu 0xfffe
	s_mul_u64 s[8:9], s[8:9], 24
	s_wait_loadcnt 0x0
	s_wait_alu 0xfffe
	v_add_co_u32 v0, vcc_lo, v5, s8
	s_wait_alu 0xfffd
	v_add_co_ci_u32_e64 v1, null, s9, v6, vcc_lo
	global_store_b64 v[0:1], v[12:13], off
	global_wb scope:SCOPE_SYS
	s_wait_storecnt 0x0
	global_atomic_cmpswap_b64 v[7:8], v9, v[10:13], s[4:5] offset:24 th:TH_ATOMIC_RETURN scope:SCOPE_SYS
	s_wait_loadcnt 0x0
	v_cmp_ne_u64_e32 vcc_lo, v[7:8], v[12:13]
	s_and_b32 exec_lo, exec_lo, vcc_lo
	s_cbranch_execz .LBB1_223
; %bb.221:
	s_mov_b32 s6, 0
.LBB1_222:                              ; =>This Inner Loop Header: Depth=1
	v_dual_mov_b32 v5, s0 :: v_dual_mov_b32 v6, s1
	s_sleep 1
	global_store_b64 v[0:1], v[7:8], off
	global_wb scope:SCOPE_SYS
	s_wait_storecnt 0x0
	global_atomic_cmpswap_b64 v[5:6], v9, v[5:8], s[4:5] offset:24 th:TH_ATOMIC_RETURN scope:SCOPE_SYS
	s_wait_loadcnt 0x0
	v_cmp_eq_u64_e32 vcc_lo, v[5:6], v[7:8]
	v_dual_mov_b32 v8, v6 :: v_dual_mov_b32 v7, v5
	s_wait_alu 0xfffe
	s_or_b32 s6, vcc_lo, s6
	s_wait_alu 0xfffe
	s_and_not1_b32 exec_lo, exec_lo, s6
	s_cbranch_execnz .LBB1_222
.LBB1_223:
	s_wait_alu 0xfffe
	s_or_b32 exec_lo, exec_lo, s2
	v_readfirstlane_b32 s0, v33
	v_mov_b32_e32 v0, 0
	v_mov_b32_e32 v1, 0
	s_wait_alu 0xf1ff
	s_delay_alu instid0(VALU_DEP_3)
	v_cmp_eq_u32_e64 s0, s0, v33
	s_and_saveexec_b32 s1, s0
	s_cbranch_execz .LBB1_229
; %bb.224:
	v_mov_b32_e32 v5, 0
	s_mov_b32 s2, exec_lo
	global_load_b64 v[8:9], v5, s[4:5] offset:24 scope:SCOPE_SYS
	s_wait_loadcnt 0x0
	global_inv scope:SCOPE_SYS
	s_clause 0x1
	global_load_b64 v[0:1], v5, s[4:5] offset:40
	global_load_b64 v[6:7], v5, s[4:5]
	s_wait_loadcnt 0x1
	v_and_b32_e32 v1, v1, v9
	v_and_b32_e32 v0, v0, v8
	s_delay_alu instid0(VALU_DEP_2) | instskip(NEXT) | instid1(VALU_DEP_2)
	v_mul_lo_u32 v1, 24, v1
	v_mul_lo_u32 v10, 0, v0
	v_mul_hi_u32 v11, 24, v0
	v_mul_lo_u32 v0, 24, v0
	s_delay_alu instid0(VALU_DEP_3) | instskip(SKIP_1) | instid1(VALU_DEP_2)
	v_add_nc_u32_e32 v1, v1, v10
	s_wait_loadcnt 0x0
	v_add_co_u32 v0, vcc_lo, v6, v0
	s_delay_alu instid0(VALU_DEP_2) | instskip(SKIP_1) | instid1(VALU_DEP_1)
	v_add_nc_u32_e32 v1, v1, v11
	s_wait_alu 0xfffd
	v_add_co_ci_u32_e64 v1, null, v7, v1, vcc_lo
	global_load_b64 v[6:7], v[0:1], off scope:SCOPE_SYS
	s_wait_loadcnt 0x0
	global_atomic_cmpswap_b64 v[0:1], v5, v[6:9], s[4:5] offset:24 th:TH_ATOMIC_RETURN scope:SCOPE_SYS
	s_wait_loadcnt 0x0
	global_inv scope:SCOPE_SYS
	v_cmpx_ne_u64_e64 v[0:1], v[8:9]
	s_cbranch_execz .LBB1_228
; %bb.225:
	s_mov_b32 s6, 0
.LBB1_226:                              ; =>This Inner Loop Header: Depth=1
	s_sleep 1
	s_clause 0x1
	global_load_b64 v[6:7], v5, s[4:5] offset:40
	global_load_b64 v[10:11], v5, s[4:5]
	v_dual_mov_b32 v9, v1 :: v_dual_mov_b32 v8, v0
	s_wait_loadcnt 0x1
	s_delay_alu instid0(VALU_DEP_1) | instskip(NEXT) | instid1(VALU_DEP_2)
	v_and_b32_e32 v0, v6, v8
	v_and_b32_e32 v6, v7, v9
	s_wait_loadcnt 0x0
	s_delay_alu instid0(VALU_DEP_2) | instskip(NEXT) | instid1(VALU_DEP_1)
	v_mad_co_u64_u32 v[0:1], null, v0, 24, v[10:11]
	v_mad_co_u64_u32 v[6:7], null, v6, 24, v[1:2]
	s_delay_alu instid0(VALU_DEP_1)
	v_mov_b32_e32 v1, v6
	global_load_b64 v[6:7], v[0:1], off scope:SCOPE_SYS
	s_wait_loadcnt 0x0
	global_atomic_cmpswap_b64 v[0:1], v5, v[6:9], s[4:5] offset:24 th:TH_ATOMIC_RETURN scope:SCOPE_SYS
	s_wait_loadcnt 0x0
	global_inv scope:SCOPE_SYS
	v_cmp_eq_u64_e32 vcc_lo, v[0:1], v[8:9]
	s_wait_alu 0xfffe
	s_or_b32 s6, vcc_lo, s6
	s_wait_alu 0xfffe
	s_and_not1_b32 exec_lo, exec_lo, s6
	s_cbranch_execnz .LBB1_226
; %bb.227:
	s_or_b32 exec_lo, exec_lo, s6
.LBB1_228:
	s_wait_alu 0xfffe
	s_or_b32 exec_lo, exec_lo, s2
.LBB1_229:
	s_wait_alu 0xfffe
	s_or_b32 exec_lo, exec_lo, s1
	v_readfirstlane_b32 s8, v0
	v_mov_b32_e32 v6, 0
	v_readfirstlane_b32 s9, v1
	s_mov_b32 s1, exec_lo
	s_clause 0x1
	global_load_b64 v[11:12], v6, s[4:5] offset:40
	global_load_b128 v[7:10], v6, s[4:5]
	s_wait_loadcnt 0x1
	s_wait_alu 0xf1ff
	v_and_b32_e32 v12, s9, v12
	v_and_b32_e32 v11, s8, v11
	s_delay_alu instid0(VALU_DEP_2) | instskip(NEXT) | instid1(VALU_DEP_2)
	v_mul_lo_u32 v0, 24, v12
	v_mul_lo_u32 v1, 0, v11
	v_mul_hi_u32 v5, 24, v11
	v_mul_lo_u32 v13, 24, v11
	s_delay_alu instid0(VALU_DEP_3) | instskip(NEXT) | instid1(VALU_DEP_1)
	v_add_nc_u32_e32 v0, v0, v1
	v_add_nc_u32_e32 v1, v0, v5
	s_wait_loadcnt 0x0
	s_delay_alu instid0(VALU_DEP_3) | instskip(SKIP_1) | instid1(VALU_DEP_2)
	v_add_co_u32 v0, vcc_lo, v7, v13
	s_wait_alu 0xfffd
	v_add_co_ci_u32_e64 v1, null, v8, v1, vcc_lo
	s_and_saveexec_b32 s2, s0
	s_cbranch_execz .LBB1_231
; %bb.230:
	s_wait_alu 0xfffe
	v_dual_mov_b32 v5, s1 :: v_dual_mov_b32 v16, 1
	v_dual_mov_b32 v15, 2 :: v_dual_mov_b32 v14, v6
	s_delay_alu instid0(VALU_DEP_2)
	v_mov_b32_e32 v13, v5
	global_store_b128 v[0:1], v[13:16], off offset:8
.LBB1_231:
	s_wait_alu 0xfffe
	s_or_b32 exec_lo, exec_lo, s2
	v_lshlrev_b64_e32 v[11:12], 12, v[11:12]
	s_mov_b32 s12, 0
	v_and_or_b32 v3, 0xffffff1f, v3, 32
	s_wait_alu 0xfffe
	s_mov_b32 s13, s12
	s_mov_b32 s14, s12
	;; [unrolled: 1-line block ×3, first 2 shown]
	v_add_co_u32 v9, vcc_lo, v9, v11
	s_wait_alu 0xfffd
	v_add_co_ci_u32_e64 v10, null, v10, v12, vcc_lo
	v_mov_b32_e32 v5, s7
	s_delay_alu instid0(VALU_DEP_3) | instskip(SKIP_1) | instid1(VALU_DEP_4)
	v_readfirstlane_b32 s6, v9
	v_add_co_u32 v9, vcc_lo, v9, v32
	v_readfirstlane_b32 s7, v10
	s_wait_alu 0xfffe
	v_dual_mov_b32 v11, s12 :: v_dual_mov_b32 v14, s15
	s_wait_alu 0xfffd
	v_add_co_ci_u32_e64 v10, null, 0, v10, vcc_lo
	v_dual_mov_b32 v12, s13 :: v_dual_mov_b32 v13, s14
	s_clause 0x3
	global_store_b128 v32, v[3:6], s[6:7]
	global_store_b128 v32, v[11:14], s[6:7] offset:16
	global_store_b128 v32, v[11:14], s[6:7] offset:32
	global_store_b128 v32, v[11:14], s[6:7] offset:48
	s_and_saveexec_b32 s1, s0
	s_cbranch_execz .LBB1_239
; %bb.232:
	v_mov_b32_e32 v11, 0
	s_mov_b32 s2, exec_lo
	s_clause 0x1
	global_load_b64 v[14:15], v11, s[4:5] offset:32 scope:SCOPE_SYS
	global_load_b64 v[3:4], v11, s[4:5] offset:40
	v_dual_mov_b32 v12, s8 :: v_dual_mov_b32 v13, s9
	s_wait_loadcnt 0x0
	v_and_b32_e32 v4, s9, v4
	v_and_b32_e32 v3, s8, v3
	s_delay_alu instid0(VALU_DEP_2) | instskip(NEXT) | instid1(VALU_DEP_2)
	v_mul_lo_u32 v4, 24, v4
	v_mul_lo_u32 v5, 0, v3
	v_mul_hi_u32 v6, 24, v3
	v_mul_lo_u32 v3, 24, v3
	s_delay_alu instid0(VALU_DEP_3) | instskip(NEXT) | instid1(VALU_DEP_2)
	v_add_nc_u32_e32 v4, v4, v5
	v_add_co_u32 v7, vcc_lo, v7, v3
	s_delay_alu instid0(VALU_DEP_2) | instskip(SKIP_1) | instid1(VALU_DEP_1)
	v_add_nc_u32_e32 v4, v4, v6
	s_wait_alu 0xfffd
	v_add_co_ci_u32_e64 v8, null, v8, v4, vcc_lo
	global_store_b64 v[7:8], v[14:15], off
	global_wb scope:SCOPE_SYS
	s_wait_storecnt 0x0
	global_atomic_cmpswap_b64 v[5:6], v11, v[12:15], s[4:5] offset:32 th:TH_ATOMIC_RETURN scope:SCOPE_SYS
	s_wait_loadcnt 0x0
	v_cmpx_ne_u64_e64 v[5:6], v[14:15]
	s_cbranch_execz .LBB1_235
; %bb.233:
	s_mov_b32 s6, 0
.LBB1_234:                              ; =>This Inner Loop Header: Depth=1
	v_dual_mov_b32 v3, s8 :: v_dual_mov_b32 v4, s9
	s_sleep 1
	global_store_b64 v[7:8], v[5:6], off
	global_wb scope:SCOPE_SYS
	s_wait_storecnt 0x0
	global_atomic_cmpswap_b64 v[3:4], v11, v[3:6], s[4:5] offset:32 th:TH_ATOMIC_RETURN scope:SCOPE_SYS
	s_wait_loadcnt 0x0
	v_cmp_eq_u64_e32 vcc_lo, v[3:4], v[5:6]
	v_dual_mov_b32 v6, v4 :: v_dual_mov_b32 v5, v3
	s_wait_alu 0xfffe
	s_or_b32 s6, vcc_lo, s6
	s_wait_alu 0xfffe
	s_and_not1_b32 exec_lo, exec_lo, s6
	s_cbranch_execnz .LBB1_234
.LBB1_235:
	s_wait_alu 0xfffe
	s_or_b32 exec_lo, exec_lo, s2
	v_mov_b32_e32 v6, 0
	s_mov_b32 s6, exec_lo
	s_mov_b32 s2, exec_lo
	s_wait_alu 0xfffe
	v_mbcnt_lo_u32_b32 v5, s6, 0
	global_load_b64 v[3:4], v6, s[4:5] offset:16
	v_cmpx_eq_u32_e32 0, v5
	s_cbranch_execz .LBB1_237
; %bb.236:
	s_bcnt1_i32_b32 s6, s6
	s_wait_alu 0xfffe
	v_mov_b32_e32 v5, s6
	global_wb scope:SCOPE_SYS
	s_wait_loadcnt 0x0
	s_wait_storecnt 0x0
	global_atomic_add_u64 v[3:4], v[5:6], off offset:8 scope:SCOPE_SYS
.LBB1_237:
	s_or_b32 exec_lo, exec_lo, s2
	s_wait_loadcnt 0x0
	global_load_b64 v[5:6], v[3:4], off offset:16
	s_wait_loadcnt 0x0
	v_cmp_eq_u64_e32 vcc_lo, 0, v[5:6]
	s_cbranch_vccnz .LBB1_239
; %bb.238:
	global_load_b32 v3, v[3:4], off offset:24
	v_mov_b32_e32 v4, 0
	s_wait_loadcnt 0x0
	v_readfirstlane_b32 s2, v3
	global_wb scope:SCOPE_SYS
	s_wait_storecnt 0x0
	global_store_b64 v[5:6], v[3:4], off scope:SCOPE_SYS
	s_and_b32 m0, s2, 0xffffff
	s_sendmsg sendmsg(MSG_INTERRUPT)
.LBB1_239:
	s_wait_alu 0xfffe
	s_or_b32 exec_lo, exec_lo, s1
	s_branch .LBB1_243
.LBB1_240:                              ;   in Loop: Header=BB1_243 Depth=1
	s_wait_alu 0xfffe
	s_or_b32 exec_lo, exec_lo, s1
	s_delay_alu instid0(VALU_DEP_1)
	v_readfirstlane_b32 s1, v3
	s_cmp_eq_u32 s1, 0
	s_cbranch_scc1 .LBB1_242
; %bb.241:                              ;   in Loop: Header=BB1_243 Depth=1
	s_sleep 1
	s_cbranch_execnz .LBB1_243
	s_branch .LBB1_245
.LBB1_242:
	s_branch .LBB1_245
.LBB1_243:                              ; =>This Inner Loop Header: Depth=1
	v_mov_b32_e32 v3, 1
	s_and_saveexec_b32 s1, s0
	s_cbranch_execz .LBB1_240
; %bb.244:                              ;   in Loop: Header=BB1_243 Depth=1
	global_load_b32 v3, v[0:1], off offset:20 scope:SCOPE_SYS
	s_wait_loadcnt 0x0
	global_inv scope:SCOPE_SYS
	v_and_b32_e32 v3, 1, v3
	s_branch .LBB1_240
.LBB1_245:
	global_load_b64 v[0:1], v[9:10], off
	s_and_saveexec_b32 s2, s0
	s_cbranch_execz .LBB1_249
; %bb.246:
	v_mov_b32_e32 v9, 0
	s_clause 0x2
	global_load_b64 v[3:4], v9, s[4:5] offset:40
	global_load_b64 v[12:13], v9, s[4:5] offset:24 scope:SCOPE_SYS
	global_load_b64 v[5:6], v9, s[4:5]
	s_wait_loadcnt 0x2
	v_readfirstlane_b32 s6, v3
	v_readfirstlane_b32 s7, v4
	s_add_nc_u64 s[0:1], s[6:7], 1
	s_wait_alu 0xfffe
	s_add_nc_u64 s[8:9], s[0:1], s[8:9]
	s_wait_alu 0xfffe
	s_cmp_eq_u64 s[8:9], 0
	s_cselect_b32 s1, s1, s9
	s_cselect_b32 s0, s0, s8
	s_wait_alu 0xfffe
	v_mov_b32_e32 v11, s1
	s_and_b64 s[6:7], s[0:1], s[6:7]
	v_mov_b32_e32 v10, s0
	s_wait_alu 0xfffe
	s_mul_u64 s[6:7], s[6:7], 24
	s_wait_loadcnt 0x0
	s_wait_alu 0xfffe
	v_add_co_u32 v7, vcc_lo, v5, s6
	s_wait_alu 0xfffd
	v_add_co_ci_u32_e64 v8, null, s7, v6, vcc_lo
	global_store_b64 v[7:8], v[12:13], off
	global_wb scope:SCOPE_SYS
	s_wait_storecnt 0x0
	global_atomic_cmpswap_b64 v[5:6], v9, v[10:13], s[4:5] offset:24 th:TH_ATOMIC_RETURN scope:SCOPE_SYS
	s_wait_loadcnt 0x0
	v_cmp_ne_u64_e32 vcc_lo, v[5:6], v[12:13]
	s_and_b32 exec_lo, exec_lo, vcc_lo
	s_cbranch_execz .LBB1_249
; %bb.247:
	s_mov_b32 s6, 0
.LBB1_248:                              ; =>This Inner Loop Header: Depth=1
	v_dual_mov_b32 v3, s0 :: v_dual_mov_b32 v4, s1
	s_sleep 1
	global_store_b64 v[7:8], v[5:6], off
	global_wb scope:SCOPE_SYS
	s_wait_storecnt 0x0
	global_atomic_cmpswap_b64 v[3:4], v9, v[3:6], s[4:5] offset:24 th:TH_ATOMIC_RETURN scope:SCOPE_SYS
	s_wait_loadcnt 0x0
	v_cmp_eq_u64_e32 vcc_lo, v[3:4], v[5:6]
	v_dual_mov_b32 v6, v4 :: v_dual_mov_b32 v5, v3
	s_wait_alu 0xfffe
	s_or_b32 s6, vcc_lo, s6
	s_wait_alu 0xfffe
	s_and_not1_b32 exec_lo, exec_lo, s6
	s_cbranch_execnz .LBB1_248
.LBB1_249:
	s_wait_alu 0xfffe
	s_or_b32 exec_lo, exec_lo, s2
	v_readfirstlane_b32 s0, v33
	v_mov_b32_e32 v8, 0
	v_mov_b32_e32 v9, 0
	s_wait_alu 0xf1ff
	s_delay_alu instid0(VALU_DEP_3)
	v_cmp_eq_u32_e64 s0, s0, v33
	s_and_saveexec_b32 s1, s0
	s_cbranch_execz .LBB1_255
; %bb.250:
	v_mov_b32_e32 v3, 0
	s_mov_b32 s2, exec_lo
	global_load_b64 v[6:7], v3, s[4:5] offset:24 scope:SCOPE_SYS
	s_wait_loadcnt 0x0
	global_inv scope:SCOPE_SYS
	s_clause 0x1
	global_load_b64 v[4:5], v3, s[4:5] offset:40
	global_load_b64 v[8:9], v3, s[4:5]
	s_wait_loadcnt 0x1
	v_and_b32_e32 v5, v5, v7
	v_and_b32_e32 v4, v4, v6
	s_delay_alu instid0(VALU_DEP_2) | instskip(NEXT) | instid1(VALU_DEP_2)
	v_mul_lo_u32 v5, 24, v5
	v_mul_lo_u32 v10, 0, v4
	v_mul_hi_u32 v11, 24, v4
	v_mul_lo_u32 v4, 24, v4
	s_delay_alu instid0(VALU_DEP_3) | instskip(SKIP_1) | instid1(VALU_DEP_2)
	v_add_nc_u32_e32 v5, v5, v10
	s_wait_loadcnt 0x0
	v_add_co_u32 v4, vcc_lo, v8, v4
	s_delay_alu instid0(VALU_DEP_2) | instskip(SKIP_1) | instid1(VALU_DEP_1)
	v_add_nc_u32_e32 v5, v5, v11
	s_wait_alu 0xfffd
	v_add_co_ci_u32_e64 v5, null, v9, v5, vcc_lo
	global_load_b64 v[4:5], v[4:5], off scope:SCOPE_SYS
	s_wait_loadcnt 0x0
	global_atomic_cmpswap_b64 v[8:9], v3, v[4:7], s[4:5] offset:24 th:TH_ATOMIC_RETURN scope:SCOPE_SYS
	s_wait_loadcnt 0x0
	global_inv scope:SCOPE_SYS
	v_cmpx_ne_u64_e64 v[8:9], v[6:7]
	s_cbranch_execz .LBB1_254
; %bb.251:
	s_mov_b32 s6, 0
.LBB1_252:                              ; =>This Inner Loop Header: Depth=1
	s_sleep 1
	s_clause 0x1
	global_load_b64 v[4:5], v3, s[4:5] offset:40
	global_load_b64 v[10:11], v3, s[4:5]
	v_dual_mov_b32 v6, v8 :: v_dual_mov_b32 v7, v9
	s_wait_loadcnt 0x1
	s_delay_alu instid0(VALU_DEP_1) | instskip(NEXT) | instid1(VALU_DEP_2)
	v_and_b32_e32 v4, v4, v6
	v_and_b32_e32 v5, v5, v7
	s_wait_loadcnt 0x0
	s_delay_alu instid0(VALU_DEP_2) | instskip(NEXT) | instid1(VALU_DEP_1)
	v_mad_co_u64_u32 v[8:9], null, v4, 24, v[10:11]
	v_mov_b32_e32 v4, v9
	s_delay_alu instid0(VALU_DEP_1) | instskip(NEXT) | instid1(VALU_DEP_1)
	v_mad_co_u64_u32 v[4:5], null, v5, 24, v[4:5]
	v_mov_b32_e32 v9, v4
	global_load_b64 v[4:5], v[8:9], off scope:SCOPE_SYS
	s_wait_loadcnt 0x0
	global_atomic_cmpswap_b64 v[8:9], v3, v[4:7], s[4:5] offset:24 th:TH_ATOMIC_RETURN scope:SCOPE_SYS
	s_wait_loadcnt 0x0
	global_inv scope:SCOPE_SYS
	v_cmp_eq_u64_e32 vcc_lo, v[8:9], v[6:7]
	s_wait_alu 0xfffe
	s_or_b32 s6, vcc_lo, s6
	s_wait_alu 0xfffe
	s_and_not1_b32 exec_lo, exec_lo, s6
	s_cbranch_execnz .LBB1_252
; %bb.253:
	s_or_b32 exec_lo, exec_lo, s6
.LBB1_254:
	s_wait_alu 0xfffe
	s_or_b32 exec_lo, exec_lo, s2
.LBB1_255:
	s_wait_alu 0xfffe
	s_or_b32 exec_lo, exec_lo, s1
	v_readfirstlane_b32 s6, v8
	v_mov_b32_e32 v3, 0
	v_readfirstlane_b32 s7, v9
	s_mov_b32 s1, exec_lo
	s_clause 0x1
	global_load_b64 v[10:11], v3, s[4:5] offset:40
	global_load_b128 v[4:7], v3, s[4:5]
	s_wait_loadcnt 0x1
	s_wait_alu 0xf1ff
	v_and_b32_e32 v11, s7, v11
	v_and_b32_e32 v10, s6, v10
	s_delay_alu instid0(VALU_DEP_2) | instskip(NEXT) | instid1(VALU_DEP_2)
	v_mul_lo_u32 v8, 24, v11
	v_mul_lo_u32 v9, 0, v10
	v_mul_hi_u32 v12, 24, v10
	v_mul_lo_u32 v13, 24, v10
	s_delay_alu instid0(VALU_DEP_3) | instskip(NEXT) | instid1(VALU_DEP_1)
	v_add_nc_u32_e32 v8, v8, v9
	v_add_nc_u32_e32 v9, v8, v12
	s_wait_loadcnt 0x0
	s_delay_alu instid0(VALU_DEP_3) | instskip(SKIP_1) | instid1(VALU_DEP_2)
	v_add_co_u32 v8, vcc_lo, v4, v13
	s_wait_alu 0xfffd
	v_add_co_ci_u32_e64 v9, null, v5, v9, vcc_lo
	s_and_saveexec_b32 s2, s0
	s_cbranch_execz .LBB1_257
; %bb.256:
	s_wait_alu 0xfffe
	v_dual_mov_b32 v12, s1 :: v_dual_mov_b32 v13, v3
	v_dual_mov_b32 v14, 2 :: v_dual_mov_b32 v15, 1
	global_store_b128 v[8:9], v[12:15], off offset:8
.LBB1_257:
	s_wait_alu 0xfffe
	s_or_b32 exec_lo, exec_lo, s2
	v_lshlrev_b64_e32 v[10:11], 12, v[10:11]
	s_mov_b32 s8, 0
	v_and_or_b32 v0, 0xffffff1d, v0, 34
	s_wait_alu 0xfffe
	s_mov_b32 s11, s8
	s_mov_b32 s9, s8
	;; [unrolled: 1-line block ×3, first 2 shown]
	v_add_co_u32 v6, vcc_lo, v6, v10
	s_wait_alu 0xfffd
	v_add_co_ci_u32_e64 v7, null, v7, v11, vcc_lo
	s_wait_alu 0xfffe
	v_dual_mov_b32 v13, s11 :: v_dual_mov_b32 v12, s10
	v_readfirstlane_b32 s12, v6
	s_delay_alu instid0(VALU_DEP_3)
	v_readfirstlane_b32 s13, v7
	v_dual_mov_b32 v11, s9 :: v_dual_mov_b32 v10, s8
	s_clause 0x3
	global_store_b128 v32, v[0:3], s[12:13]
	global_store_b128 v32, v[10:13], s[12:13] offset:16
	global_store_b128 v32, v[10:13], s[12:13] offset:32
	;; [unrolled: 1-line block ×3, first 2 shown]
	s_and_saveexec_b32 s1, s0
	s_cbranch_execz .LBB1_264
; %bb.258:
	v_mov_b32_e32 v6, 0
	s_mov_b32 s2, exec_lo
	s_clause 0x1
	global_load_b64 v[12:13], v6, s[4:5] offset:32 scope:SCOPE_SYS
	global_load_b64 v[0:1], v6, s[4:5] offset:40
	v_dual_mov_b32 v11, s7 :: v_dual_mov_b32 v10, s6
	s_wait_loadcnt 0x0
	v_and_b32_e32 v1, s7, v1
	v_and_b32_e32 v0, s6, v0
	s_delay_alu instid0(VALU_DEP_2) | instskip(NEXT) | instid1(VALU_DEP_2)
	v_mul_lo_u32 v1, 24, v1
	v_mul_lo_u32 v2, 0, v0
	v_mul_hi_u32 v3, 24, v0
	v_mul_lo_u32 v0, 24, v0
	s_delay_alu instid0(VALU_DEP_3) | instskip(NEXT) | instid1(VALU_DEP_2)
	v_add_nc_u32_e32 v1, v1, v2
	v_add_co_u32 v4, vcc_lo, v4, v0
	s_delay_alu instid0(VALU_DEP_2) | instskip(SKIP_1) | instid1(VALU_DEP_1)
	v_add_nc_u32_e32 v1, v1, v3
	s_wait_alu 0xfffd
	v_add_co_ci_u32_e64 v5, null, v5, v1, vcc_lo
	global_store_b64 v[4:5], v[12:13], off
	global_wb scope:SCOPE_SYS
	s_wait_storecnt 0x0
	global_atomic_cmpswap_b64 v[2:3], v6, v[10:13], s[4:5] offset:32 th:TH_ATOMIC_RETURN scope:SCOPE_SYS
	s_wait_loadcnt 0x0
	v_cmpx_ne_u64_e64 v[2:3], v[12:13]
	s_cbranch_execz .LBB1_260
.LBB1_259:                              ; =>This Inner Loop Header: Depth=1
	v_dual_mov_b32 v0, s6 :: v_dual_mov_b32 v1, s7
	s_sleep 1
	global_store_b64 v[4:5], v[2:3], off
	global_wb scope:SCOPE_SYS
	s_wait_storecnt 0x0
	global_atomic_cmpswap_b64 v[0:1], v6, v[0:3], s[4:5] offset:32 th:TH_ATOMIC_RETURN scope:SCOPE_SYS
	s_wait_loadcnt 0x0
	v_cmp_eq_u64_e32 vcc_lo, v[0:1], v[2:3]
	v_dual_mov_b32 v3, v1 :: v_dual_mov_b32 v2, v0
	s_or_b32 s8, vcc_lo, s8
	s_wait_alu 0xfffe
	s_and_not1_b32 exec_lo, exec_lo, s8
	s_cbranch_execnz .LBB1_259
.LBB1_260:
	s_wait_alu 0xfffe
	s_or_b32 exec_lo, exec_lo, s2
	v_mov_b32_e32 v3, 0
	s_mov_b32 s8, exec_lo
	s_mov_b32 s2, exec_lo
	s_wait_alu 0xfffe
	v_mbcnt_lo_u32_b32 v2, s8, 0
	global_load_b64 v[0:1], v3, s[4:5] offset:16
	v_cmpx_eq_u32_e32 0, v2
	s_cbranch_execz .LBB1_262
; %bb.261:
	s_bcnt1_i32_b32 s8, s8
	s_wait_alu 0xfffe
	v_mov_b32_e32 v2, s8
	global_wb scope:SCOPE_SYS
	s_wait_loadcnt 0x0
	s_wait_storecnt 0x0
	global_atomic_add_u64 v[0:1], v[2:3], off offset:8 scope:SCOPE_SYS
.LBB1_262:
	s_or_b32 exec_lo, exec_lo, s2
	s_wait_loadcnt 0x0
	global_load_b64 v[2:3], v[0:1], off offset:16
	s_wait_loadcnt 0x0
	v_cmp_eq_u64_e32 vcc_lo, 0, v[2:3]
	s_cbranch_vccnz .LBB1_264
; %bb.263:
	global_load_b32 v0, v[0:1], off offset:24
	v_mov_b32_e32 v1, 0
	s_wait_loadcnt 0x0
	v_readfirstlane_b32 s2, v0
	global_wb scope:SCOPE_SYS
	s_wait_storecnt 0x0
	global_store_b64 v[2:3], v[0:1], off scope:SCOPE_SYS
	s_and_b32 m0, s2, 0xffffff
	s_sendmsg sendmsg(MSG_INTERRUPT)
.LBB1_264:
	s_wait_alu 0xfffe
	s_or_b32 exec_lo, exec_lo, s1
	s_branch .LBB1_268
.LBB1_265:                              ;   in Loop: Header=BB1_268 Depth=1
	s_wait_alu 0xfffe
	s_or_b32 exec_lo, exec_lo, s1
	s_delay_alu instid0(VALU_DEP_1)
	v_readfirstlane_b32 s1, v0
	s_cmp_eq_u32 s1, 0
	s_cbranch_scc1 .LBB1_267
; %bb.266:                              ;   in Loop: Header=BB1_268 Depth=1
	s_sleep 1
	s_cbranch_execnz .LBB1_268
	s_branch .LBB1_270
.LBB1_267:
	s_branch .LBB1_270
.LBB1_268:                              ; =>This Inner Loop Header: Depth=1
	v_mov_b32_e32 v0, 1
	s_and_saveexec_b32 s1, s0
	s_cbranch_execz .LBB1_265
; %bb.269:                              ;   in Loop: Header=BB1_268 Depth=1
	global_load_b32 v0, v[8:9], off offset:20 scope:SCOPE_SYS
	s_wait_loadcnt 0x0
	global_inv scope:SCOPE_SYS
	v_and_b32_e32 v0, 1, v0
	s_branch .LBB1_265
.LBB1_270:
	s_and_b32 exec_lo, exec_lo, s0
	s_cbranch_execz .LBB1_274
; %bb.271:
	v_mov_b32_e32 v6, 0
	s_clause 0x2
	global_load_b64 v[0:1], v6, s[4:5] offset:40
	global_load_b64 v[9:10], v6, s[4:5] offset:24 scope:SCOPE_SYS
	global_load_b64 v[2:3], v6, s[4:5]
	s_wait_loadcnt 0x2
	v_readfirstlane_b32 s8, v0
	v_readfirstlane_b32 s9, v1
	s_add_nc_u64 s[0:1], s[8:9], 1
	s_wait_alu 0xfffe
	s_add_nc_u64 s[6:7], s[0:1], s[6:7]
	s_wait_alu 0xfffe
	s_cmp_eq_u64 s[6:7], 0
	s_cselect_b32 s1, s1, s7
	s_cselect_b32 s0, s0, s6
	s_wait_alu 0xfffe
	v_mov_b32_e32 v8, s1
	s_and_b64 s[6:7], s[0:1], s[8:9]
	v_mov_b32_e32 v7, s0
	s_wait_alu 0xfffe
	s_mul_u64 s[6:7], s[6:7], 24
	s_wait_loadcnt 0x0
	s_wait_alu 0xfffe
	v_add_co_u32 v4, vcc_lo, v2, s6
	s_wait_alu 0xfffd
	v_add_co_ci_u32_e64 v5, null, s7, v3, vcc_lo
	global_store_b64 v[4:5], v[9:10], off
	global_wb scope:SCOPE_SYS
	s_wait_storecnt 0x0
	global_atomic_cmpswap_b64 v[2:3], v6, v[7:10], s[4:5] offset:24 th:TH_ATOMIC_RETURN scope:SCOPE_SYS
	s_wait_loadcnt 0x0
	v_cmp_ne_u64_e32 vcc_lo, v[2:3], v[9:10]
	s_and_b32 exec_lo, exec_lo, vcc_lo
	s_cbranch_execz .LBB1_274
; %bb.272:
	s_mov_b32 s2, 0
.LBB1_273:                              ; =>This Inner Loop Header: Depth=1
	v_dual_mov_b32 v0, s0 :: v_dual_mov_b32 v1, s1
	s_sleep 1
	global_store_b64 v[4:5], v[2:3], off
	global_wb scope:SCOPE_SYS
	s_wait_storecnt 0x0
	global_atomic_cmpswap_b64 v[0:1], v6, v[0:3], s[4:5] offset:24 th:TH_ATOMIC_RETURN scope:SCOPE_SYS
	s_wait_loadcnt 0x0
	v_cmp_eq_u64_e32 vcc_lo, v[0:1], v[2:3]
	v_dual_mov_b32 v3, v1 :: v_dual_mov_b32 v2, v0
	s_wait_alu 0xfffe
	s_or_b32 s2, vcc_lo, s2
	s_wait_alu 0xfffe
	s_and_not1_b32 exec_lo, exec_lo, s2
	s_cbranch_execnz .LBB1_273
.LBB1_274:
	s_or_b32 exec_lo, exec_lo, s19
.LBB1_275:
	s_delay_alu instid0(SALU_CYCLE_1)
	s_and_b32 vcc_lo, exec_lo, s18
	s_wait_alu 0xfffe
	s_cbranch_vccnz .LBB1_280
; %bb.276:
	s_mov_b32 s2, 0
.LBB1_277:
	s_wait_alu 0xfffe
	s_and_b32 vcc_lo, exec_lo, s2
	s_wait_alu 0xfffe
	s_cbranch_vccnz .LBB1_281
.LBB1_278:
	s_wait_alu 0xfffe
	s_and_not1_b32 vcc_lo, exec_lo, s3
	s_wait_alu 0xfffe
	s_cbranch_vccz .LBB1_282
; %bb.279:
	s_endpgm
.LBB1_280:
	s_mov_b32 s3, -1
	s_trap 2
	s_branch .LBB1_278
.LBB1_281:
	s_trap 2
.LBB1_282:
	; divergent unreachable
	s_endpgm
	.section	.rodata,"a",@progbits
	.p2align	6, 0x0
	.amdhsa_kernel _Z32kernel_cg_group_partition_nestedjjPibS_
		.amdhsa_group_segment_fixed_size 0
		.amdhsa_private_segment_fixed_size 0
		.amdhsa_kernarg_size 288
		.amdhsa_user_sgpr_count 2
		.amdhsa_user_sgpr_dispatch_ptr 0
		.amdhsa_user_sgpr_queue_ptr 0
		.amdhsa_user_sgpr_kernarg_segment_ptr 1
		.amdhsa_user_sgpr_dispatch_id 0
		.amdhsa_user_sgpr_private_segment_size 0
		.amdhsa_wavefront_size32 1
		.amdhsa_uses_dynamic_stack 0
		.amdhsa_enable_private_segment 0
		.amdhsa_system_sgpr_workgroup_id_x 1
		.amdhsa_system_sgpr_workgroup_id_y 0
		.amdhsa_system_sgpr_workgroup_id_z 0
		.amdhsa_system_sgpr_workgroup_info 0
		.amdhsa_system_vgpr_workitem_id 2
		.amdhsa_next_free_vgpr 37
		.amdhsa_next_free_sgpr 24
		.amdhsa_reserve_vcc 1
		.amdhsa_float_round_mode_32 0
		.amdhsa_float_round_mode_16_64 0
		.amdhsa_float_denorm_mode_32 3
		.amdhsa_float_denorm_mode_16_64 3
		.amdhsa_fp16_overflow 0
		.amdhsa_workgroup_processor_mode 1
		.amdhsa_memory_ordered 1
		.amdhsa_forward_progress 1
		.amdhsa_inst_pref_size 123
		.amdhsa_round_robin_scheduling 0
		.amdhsa_exception_fp_ieee_invalid_op 0
		.amdhsa_exception_fp_denorm_src 0
		.amdhsa_exception_fp_ieee_div_zero 0
		.amdhsa_exception_fp_ieee_overflow 0
		.amdhsa_exception_fp_ieee_underflow 0
		.amdhsa_exception_fp_ieee_inexact 0
		.amdhsa_exception_int_div_zero 0
	.end_amdhsa_kernel
	.text
.Lfunc_end1:
	.size	_Z32kernel_cg_group_partition_nestedjjPibS_, .Lfunc_end1-_Z32kernel_cg_group_partition_nestedjjPibS_
                                        ; -- End function
	.set _Z32kernel_cg_group_partition_nestedjjPibS_.num_vgpr, 37
	.set _Z32kernel_cg_group_partition_nestedjjPibS_.num_agpr, 0
	.set _Z32kernel_cg_group_partition_nestedjjPibS_.numbered_sgpr, 24
	.set _Z32kernel_cg_group_partition_nestedjjPibS_.num_named_barrier, 0
	.set _Z32kernel_cg_group_partition_nestedjjPibS_.private_seg_size, 0
	.set _Z32kernel_cg_group_partition_nestedjjPibS_.uses_vcc, 1
	.set _Z32kernel_cg_group_partition_nestedjjPibS_.uses_flat_scratch, 0
	.set _Z32kernel_cg_group_partition_nestedjjPibS_.has_dyn_sized_stack, 0
	.set _Z32kernel_cg_group_partition_nestedjjPibS_.has_recursion, 0
	.set _Z32kernel_cg_group_partition_nestedjjPibS_.has_indirect_call, 0
	.section	.AMDGPU.csdata,"",@progbits
; Kernel info:
; codeLenInByte = 15696
; TotalNumSgprs: 26
; NumVgprs: 37
; ScratchSize: 0
; MemoryBound: 0
; FloatMode: 240
; IeeeMode: 1
; LDSByteSize: 0 bytes/workgroup (compile time only)
; SGPRBlocks: 0
; VGPRBlocks: 4
; NumSGPRsForWavesPerEU: 26
; NumVGPRsForWavesPerEU: 37
; Occupancy: 16
; WaveLimiterHint : 1
; COMPUTE_PGM_RSRC2:SCRATCH_EN: 0
; COMPUTE_PGM_RSRC2:USER_SGPR: 2
; COMPUTE_PGM_RSRC2:TRAP_HANDLER: 0
; COMPUTE_PGM_RSRC2:TGID_X_EN: 1
; COMPUTE_PGM_RSRC2:TGID_Y_EN: 0
; COMPUTE_PGM_RSRC2:TGID_Z_EN: 0
; COMPUTE_PGM_RSRC2:TIDIG_COMP_CNT: 2
	.section	.text._Z32kernel_cg_group_partition_staticILj2EEvPibS0_,"axG",@progbits,_Z32kernel_cg_group_partition_staticILj2EEvPibS0_,comdat
	.protected	_Z32kernel_cg_group_partition_staticILj2EEvPibS0_ ; -- Begin function _Z32kernel_cg_group_partition_staticILj2EEvPibS0_
	.globl	_Z32kernel_cg_group_partition_staticILj2EEvPibS0_
	.p2align	8
	.type	_Z32kernel_cg_group_partition_staticILj2EEvPibS0_,@function
_Z32kernel_cg_group_partition_staticILj2EEvPibS0_: ; @_Z32kernel_cg_group_partition_staticILj2EEvPibS0_
; %bb.0:
	s_mov_b64 s[2:3], src_shared_base
	s_clause 0x2
	s_load_b32 s2, s[0:1], 0x8
	s_load_b64 s[4:5], s[0:1], 0x24
	s_load_b64 s[6:7], s[0:1], 0x10
	v_bfe_u32 v1, v0, 10, 10
	v_bfe_u32 v2, v0, 20, 10
	v_and_b32_e32 v0, 0x3ff, v0
	s_wait_kmcnt 0x0
	s_and_b32 s2, 1, s2
	s_lshr_b32 s8, s4, 16
	s_and_b32 s4, s4, 0xffff
	v_mad_u32_u24 v1, v2, s8, v1
	s_and_b32 s5, s5, 0xffff
	s_cmp_lg_u32 0, -1
	s_mul_i32 s20, s8, s4
	s_cselect_b32 s9, 0, 0
	v_mad_co_u64_u32 v[29:30], null, v1, s4, v[0:1]
	s_cselect_b32 s3, s3, 0
	s_cmp_eq_u32 s2, 1
	s_mul_i32 s20, s20, s5
	s_cselect_b32 s21, s7, s3
	s_wait_alu 0xfffe
	s_cselect_b32 s22, s6, s9
	s_cmp_lt_u32 s20, 2
	s_mov_b32 s3, 0
	s_cbranch_scc1 .LBB2_6
; %bb.1:
	v_ashrrev_i32_e32 v30, 31, v29
	v_mov_b32_e32 v33, v29
	s_mov_b32 s4, s20
	s_delay_alu instid0(VALU_DEP_2) | instskip(NEXT) | instid1(VALU_DEP_1)
	v_lshlrev_b64_e32 v[0:1], 2, v[29:30]
	v_add_co_u32 v0, vcc_lo, s22, v0
	s_delay_alu instid0(VALU_DEP_1)
	v_add_co_ci_u32_e64 v1, null, s21, v1, vcc_lo
.LBB2_2:                                ; =>This Inner Loop Header: Depth=1
	s_wait_alu 0xfffe
	s_lshr_b32 s2, s4, 1
	s_mov_b32 s5, exec_lo
	flat_store_b32 v[0:1], v33
	s_wait_storecnt_dscnt 0x0
	s_barrier_signal -1
	s_barrier_wait -1
	global_inv scope:SCOPE_SE
	s_wait_alu 0xfffe
	v_cmpx_gt_i32_e64 s2, v29
	s_cbranch_execz .LBB2_4
; %bb.3:                                ;   in Loop: Header=BB2_2 Depth=1
	s_lshl_b64 s[6:7], s[2:3], 2
	s_wait_alu 0xfffe
	v_add_co_u32 v2, vcc_lo, v0, s6
	s_wait_alu 0xfffd
	v_add_co_ci_u32_e64 v3, null, s7, v1, vcc_lo
	flat_load_b32 v2, v[2:3]
	s_wait_loadcnt_dscnt 0x0
	v_add_nc_u32_e32 v33, v2, v33
.LBB2_4:                                ;   in Loop: Header=BB2_2 Depth=1
	s_wait_alu 0xfffe
	s_or_b32 exec_lo, exec_lo, s5
	s_cmp_gt_u32 s4, 3
	s_wait_loadcnt 0x0
	s_barrier_signal -1
	s_barrier_wait -1
	global_inv scope:SCOPE_SE
	s_cbranch_scc0 .LBB2_7
; %bb.5:                                ;   in Loop: Header=BB2_2 Depth=1
	s_mov_b32 s4, s2
	s_branch .LBB2_2
.LBB2_6:
	v_mov_b32_e32 v33, v29
.LBB2_7:
	v_cmp_eq_u32_e64 s2, 0, v29
	s_add_nc_u64 s[4:5], s[0:1], 24
	s_and_saveexec_b32 s23, s2
	s_cbranch_execz .LBB2_401
; %bb.8:
	s_load_b64 s[6:7], s[4:5], 0x50
	v_mbcnt_lo_u32_b32 v32, -1, 0
	v_mov_b32_e32 v6, 0
	v_mov_b32_e32 v7, 0
	s_delay_alu instid0(VALU_DEP_3) | instskip(SKIP_1) | instid1(VALU_DEP_1)
	v_readfirstlane_b32 s3, v32
	s_wait_alu 0xf1ff
	v_cmp_eq_u32_e64 s3, s3, v32
	s_and_saveexec_b32 s8, s3
	s_cbranch_execz .LBB2_14
; %bb.9:
	v_mov_b32_e32 v0, 0
	s_mov_b32 s9, exec_lo
	s_wait_kmcnt 0x0
	global_load_b64 v[3:4], v0, s[6:7] offset:24 scope:SCOPE_SYS
	s_wait_loadcnt 0x0
	global_inv scope:SCOPE_SYS
	s_clause 0x1
	global_load_b64 v[1:2], v0, s[6:7] offset:40
	global_load_b64 v[5:6], v0, s[6:7]
	s_wait_loadcnt 0x1
	v_and_b32_e32 v2, v2, v4
	v_and_b32_e32 v1, v1, v3
	s_delay_alu instid0(VALU_DEP_2) | instskip(NEXT) | instid1(VALU_DEP_2)
	v_mul_lo_u32 v2, 24, v2
	v_mul_lo_u32 v7, 0, v1
	v_mul_hi_u32 v8, 24, v1
	v_mul_lo_u32 v1, 24, v1
	s_delay_alu instid0(VALU_DEP_3) | instskip(SKIP_1) | instid1(VALU_DEP_2)
	v_add_nc_u32_e32 v2, v2, v7
	s_wait_loadcnt 0x0
	v_add_co_u32 v1, vcc_lo, v5, v1
	s_delay_alu instid0(VALU_DEP_2) | instskip(SKIP_1) | instid1(VALU_DEP_1)
	v_add_nc_u32_e32 v2, v2, v8
	s_wait_alu 0xfffd
	v_add_co_ci_u32_e64 v2, null, v6, v2, vcc_lo
	global_load_b64 v[1:2], v[1:2], off scope:SCOPE_SYS
	s_wait_loadcnt 0x0
	global_atomic_cmpswap_b64 v[6:7], v0, v[1:4], s[6:7] offset:24 th:TH_ATOMIC_RETURN scope:SCOPE_SYS
	s_wait_loadcnt 0x0
	global_inv scope:SCOPE_SYS
	v_cmpx_ne_u64_e64 v[6:7], v[3:4]
	s_cbranch_execz .LBB2_13
; %bb.10:
	s_mov_b32 s10, 0
.LBB2_11:                               ; =>This Inner Loop Header: Depth=1
	s_sleep 1
	s_clause 0x1
	global_load_b64 v[1:2], v0, s[6:7] offset:40
	global_load_b64 v[8:9], v0, s[6:7]
	v_dual_mov_b32 v3, v6 :: v_dual_mov_b32 v4, v7
	s_wait_loadcnt 0x1
	s_delay_alu instid0(VALU_DEP_1) | instskip(NEXT) | instid1(VALU_DEP_2)
	v_and_b32_e32 v1, v1, v3
	v_and_b32_e32 v2, v2, v4
	s_wait_loadcnt 0x0
	s_delay_alu instid0(VALU_DEP_2) | instskip(NEXT) | instid1(VALU_DEP_1)
	v_mad_co_u64_u32 v[5:6], null, v1, 24, v[8:9]
	v_mov_b32_e32 v1, v6
	s_delay_alu instid0(VALU_DEP_1) | instskip(NEXT) | instid1(VALU_DEP_1)
	v_mad_co_u64_u32 v[1:2], null, v2, 24, v[1:2]
	v_mov_b32_e32 v6, v1
	global_load_b64 v[1:2], v[5:6], off scope:SCOPE_SYS
	s_wait_loadcnt 0x0
	global_atomic_cmpswap_b64 v[6:7], v0, v[1:4], s[6:7] offset:24 th:TH_ATOMIC_RETURN scope:SCOPE_SYS
	s_wait_loadcnt 0x0
	global_inv scope:SCOPE_SYS
	v_cmp_eq_u64_e32 vcc_lo, v[6:7], v[3:4]
	s_or_b32 s10, vcc_lo, s10
	s_delay_alu instid0(SALU_CYCLE_1)
	s_and_not1_b32 exec_lo, exec_lo, s10
	s_cbranch_execnz .LBB2_11
; %bb.12:
	s_or_b32 exec_lo, exec_lo, s10
.LBB2_13:
	s_wait_alu 0xfffe
	s_or_b32 exec_lo, exec_lo, s9
.LBB2_14:
	s_wait_alu 0xfffe
	s_or_b32 exec_lo, exec_lo, s8
	v_readfirstlane_b32 s8, v6
	v_mov_b32_e32 v5, 0
	v_readfirstlane_b32 s9, v7
	s_mov_b32 s10, exec_lo
	s_wait_kmcnt 0x0
	s_clause 0x1
	global_load_b64 v[8:9], v5, s[6:7] offset:40
	global_load_b128 v[0:3], v5, s[6:7]
	s_wait_loadcnt 0x1
	s_wait_alu 0xf1ff
	v_and_b32_e32 v11, s9, v9
	v_and_b32_e32 v10, s8, v8
	s_delay_alu instid0(VALU_DEP_2) | instskip(NEXT) | instid1(VALU_DEP_2)
	v_mul_lo_u32 v4, 24, v11
	v_mul_lo_u32 v6, 0, v10
	v_mul_hi_u32 v7, 24, v10
	v_mul_lo_u32 v8, 24, v10
	s_delay_alu instid0(VALU_DEP_3) | instskip(SKIP_1) | instid1(VALU_DEP_2)
	v_add_nc_u32_e32 v4, v4, v6
	s_wait_loadcnt 0x0
	v_add_co_u32 v8, vcc_lo, v0, v8
	s_delay_alu instid0(VALU_DEP_2) | instskip(SKIP_1) | instid1(VALU_DEP_1)
	v_add_nc_u32_e32 v4, v4, v7
	s_wait_alu 0xfffd
	v_add_co_ci_u32_e64 v9, null, v1, v4, vcc_lo
	s_and_saveexec_b32 s11, s3
	s_cbranch_execz .LBB2_16
; %bb.15:
	v_dual_mov_b32 v4, s10 :: v_dual_mov_b32 v7, 1
	v_mov_b32_e32 v6, 2
	global_store_b128 v[8:9], v[4:7], off offset:8
.LBB2_16:
	s_or_b32 exec_lo, exec_lo, s11
	v_lshlrev_b64_e32 v[10:11], 12, v[10:11]
	v_dual_mov_b32 v7, v5 :: v_dual_lshlrev_b32 v28, 6, v32
	s_mov_b32 s12, 0
	s_delay_alu instid0(SALU_CYCLE_1) | instskip(NEXT) | instid1(VALU_DEP_2)
	s_mov_b32 s13, s12
	v_add_co_u32 v2, vcc_lo, v2, v10
	s_wait_alu 0xfffd
	v_add_co_ci_u32_e64 v3, null, v3, v11, vcc_lo
	s_mov_b32 s14, s12
	v_add_co_u32 v10, vcc_lo, v2, v28
	s_mov_b32 s15, s12
	v_mov_b32_e32 v4, 33
	v_mov_b32_e32 v6, v5
	v_readfirstlane_b32 s10, v2
	v_readfirstlane_b32 s11, v3
	v_mov_b32_e32 v12, s12
	s_wait_alu 0xfffd
	v_add_co_ci_u32_e64 v11, null, 0, v3, vcc_lo
	v_dual_mov_b32 v13, s13 :: v_dual_mov_b32 v14, s14
	v_mov_b32_e32 v15, s15
	s_clause 0x3
	global_store_b128 v28, v[4:7], s[10:11]
	global_store_b128 v28, v[12:15], s[10:11] offset:16
	global_store_b128 v28, v[12:15], s[10:11] offset:32
	;; [unrolled: 1-line block ×3, first 2 shown]
	s_and_saveexec_b32 s10, s3
	s_cbranch_execz .LBB2_23
; %bb.17:
	v_mov_b32_e32 v6, 0
	s_mov_b32 s11, exec_lo
	s_clause 0x1
	global_load_b64 v[14:15], v6, s[6:7] offset:32 scope:SCOPE_SYS
	global_load_b64 v[2:3], v6, s[6:7] offset:40
	v_dual_mov_b32 v13, s9 :: v_dual_mov_b32 v12, s8
	s_wait_loadcnt 0x0
	v_and_b32_e32 v3, s9, v3
	v_and_b32_e32 v2, s8, v2
	s_delay_alu instid0(VALU_DEP_2) | instskip(NEXT) | instid1(VALU_DEP_2)
	v_mul_lo_u32 v3, 24, v3
	v_mul_lo_u32 v4, 0, v2
	v_mul_hi_u32 v5, 24, v2
	v_mul_lo_u32 v2, 24, v2
	s_delay_alu instid0(VALU_DEP_3) | instskip(NEXT) | instid1(VALU_DEP_2)
	v_add_nc_u32_e32 v3, v3, v4
	v_add_co_u32 v4, vcc_lo, v0, v2
	s_delay_alu instid0(VALU_DEP_2) | instskip(SKIP_1) | instid1(VALU_DEP_1)
	v_add_nc_u32_e32 v3, v3, v5
	s_wait_alu 0xfffd
	v_add_co_ci_u32_e64 v5, null, v1, v3, vcc_lo
	global_store_b64 v[4:5], v[14:15], off
	global_wb scope:SCOPE_SYS
	s_wait_storecnt 0x0
	global_atomic_cmpswap_b64 v[2:3], v6, v[12:15], s[6:7] offset:32 th:TH_ATOMIC_RETURN scope:SCOPE_SYS
	s_wait_loadcnt 0x0
	v_cmpx_ne_u64_e64 v[2:3], v[14:15]
	s_cbranch_execz .LBB2_19
.LBB2_18:                               ; =>This Inner Loop Header: Depth=1
	v_dual_mov_b32 v0, s8 :: v_dual_mov_b32 v1, s9
	s_sleep 1
	global_store_b64 v[4:5], v[2:3], off
	global_wb scope:SCOPE_SYS
	s_wait_storecnt 0x0
	global_atomic_cmpswap_b64 v[0:1], v6, v[0:3], s[6:7] offset:32 th:TH_ATOMIC_RETURN scope:SCOPE_SYS
	s_wait_loadcnt 0x0
	v_cmp_eq_u64_e32 vcc_lo, v[0:1], v[2:3]
	v_dual_mov_b32 v3, v1 :: v_dual_mov_b32 v2, v0
	s_or_b32 s12, vcc_lo, s12
	s_wait_alu 0xfffe
	s_and_not1_b32 exec_lo, exec_lo, s12
	s_cbranch_execnz .LBB2_18
.LBB2_19:
	s_wait_alu 0xfffe
	s_or_b32 exec_lo, exec_lo, s11
	v_mov_b32_e32 v3, 0
	s_mov_b32 s12, exec_lo
	s_mov_b32 s11, exec_lo
	s_wait_alu 0xfffe
	v_mbcnt_lo_u32_b32 v2, s12, 0
	global_load_b64 v[0:1], v3, s[6:7] offset:16
	v_cmpx_eq_u32_e32 0, v2
	s_cbranch_execz .LBB2_21
; %bb.20:
	s_bcnt1_i32_b32 s12, s12
	s_wait_alu 0xfffe
	v_mov_b32_e32 v2, s12
	global_wb scope:SCOPE_SYS
	s_wait_loadcnt 0x0
	s_wait_storecnt 0x0
	global_atomic_add_u64 v[0:1], v[2:3], off offset:8 scope:SCOPE_SYS
.LBB2_21:
	s_or_b32 exec_lo, exec_lo, s11
	s_wait_loadcnt 0x0
	global_load_b64 v[2:3], v[0:1], off offset:16
	s_wait_loadcnt 0x0
	v_cmp_eq_u64_e32 vcc_lo, 0, v[2:3]
	s_cbranch_vccnz .LBB2_23
; %bb.22:
	global_load_b32 v0, v[0:1], off offset:24
	v_mov_b32_e32 v1, 0
	s_wait_loadcnt 0x0
	v_readfirstlane_b32 s11, v0
	global_wb scope:SCOPE_SYS
	s_wait_storecnt 0x0
	global_store_b64 v[2:3], v[0:1], off scope:SCOPE_SYS
	s_and_b32 m0, s11, 0xffffff
	s_sendmsg sendmsg(MSG_INTERRUPT)
.LBB2_23:
	s_wait_alu 0xfffe
	s_or_b32 exec_lo, exec_lo, s10
	s_branch .LBB2_27
.LBB2_24:                               ;   in Loop: Header=BB2_27 Depth=1
	s_wait_alu 0xfffe
	s_or_b32 exec_lo, exec_lo, s10
	s_delay_alu instid0(VALU_DEP_1)
	v_readfirstlane_b32 s10, v0
	s_cmp_eq_u32 s10, 0
	s_cbranch_scc1 .LBB2_26
; %bb.25:                               ;   in Loop: Header=BB2_27 Depth=1
	s_sleep 1
	s_cbranch_execnz .LBB2_27
	s_branch .LBB2_29
.LBB2_26:
	s_branch .LBB2_29
.LBB2_27:                               ; =>This Inner Loop Header: Depth=1
	v_mov_b32_e32 v0, 1
	s_and_saveexec_b32 s10, s3
	s_cbranch_execz .LBB2_24
; %bb.28:                               ;   in Loop: Header=BB2_27 Depth=1
	global_load_b32 v0, v[8:9], off offset:20 scope:SCOPE_SYS
	s_wait_loadcnt 0x0
	global_inv scope:SCOPE_SYS
	v_and_b32_e32 v0, 1, v0
	s_branch .LBB2_24
.LBB2_29:
	global_load_b64 v[0:1], v[10:11], off
	s_and_saveexec_b32 s10, s3
	s_cbranch_execz .LBB2_33
; %bb.30:
	v_mov_b32_e32 v8, 0
	s_clause 0x2
	global_load_b64 v[2:3], v8, s[6:7] offset:40
	global_load_b64 v[11:12], v8, s[6:7] offset:24 scope:SCOPE_SYS
	global_load_b64 v[4:5], v8, s[6:7]
	s_wait_loadcnt 0x2
	v_readfirstlane_b32 s12, v2
	v_readfirstlane_b32 s13, v3
	s_add_nc_u64 s[14:15], s[12:13], 1
	s_wait_alu 0xfffe
	s_add_nc_u64 s[8:9], s[14:15], s[8:9]
	s_wait_alu 0xfffe
	s_cmp_eq_u64 s[8:9], 0
	s_cselect_b32 s9, s15, s9
	s_cselect_b32 s8, s14, s8
	s_wait_alu 0xfffe
	v_mov_b32_e32 v10, s9
	s_and_b64 s[12:13], s[8:9], s[12:13]
	v_mov_b32_e32 v9, s8
	s_wait_alu 0xfffe
	s_mul_u64 s[12:13], s[12:13], 24
	s_wait_loadcnt 0x0
	s_wait_alu 0xfffe
	v_add_co_u32 v6, vcc_lo, v4, s12
	s_wait_alu 0xfffd
	v_add_co_ci_u32_e64 v7, null, s13, v5, vcc_lo
	global_store_b64 v[6:7], v[11:12], off
	global_wb scope:SCOPE_SYS
	s_wait_storecnt 0x0
	global_atomic_cmpswap_b64 v[4:5], v8, v[9:12], s[6:7] offset:24 th:TH_ATOMIC_RETURN scope:SCOPE_SYS
	s_wait_loadcnt 0x0
	v_cmp_ne_u64_e32 vcc_lo, v[4:5], v[11:12]
	s_and_b32 exec_lo, exec_lo, vcc_lo
	s_cbranch_execz .LBB2_33
; %bb.31:
	s_mov_b32 s3, 0
.LBB2_32:                               ; =>This Inner Loop Header: Depth=1
	v_dual_mov_b32 v2, s8 :: v_dual_mov_b32 v3, s9
	s_sleep 1
	global_store_b64 v[6:7], v[4:5], off
	global_wb scope:SCOPE_SYS
	s_wait_storecnt 0x0
	global_atomic_cmpswap_b64 v[2:3], v8, v[2:5], s[6:7] offset:24 th:TH_ATOMIC_RETURN scope:SCOPE_SYS
	s_wait_loadcnt 0x0
	v_cmp_eq_u64_e32 vcc_lo, v[2:3], v[4:5]
	v_dual_mov_b32 v5, v3 :: v_dual_mov_b32 v4, v2
	s_wait_alu 0xfffe
	s_or_b32 s3, vcc_lo, s3
	s_wait_alu 0xfffe
	s_and_not1_b32 exec_lo, exec_lo, s3
	s_cbranch_execnz .LBB2_32
.LBB2_33:
	s_wait_alu 0xfffe
	s_or_b32 exec_lo, exec_lo, s10
	s_getpc_b64 s[8:9]
	s_wait_alu 0xfffe
	s_sext_i32_i16 s9, s9
	s_add_co_u32 s8, s8, .str.8@rel32@lo+12
	s_wait_alu 0xfffe
	s_add_co_ci_u32 s9, s9, .str.8@rel32@hi+24
	s_wait_alu 0xfffe
	s_cmp_lg_u64 s[8:9], 0
	s_cbranch_scc0 .LBB2_112
; %bb.34:
	s_wait_loadcnt 0x0
	v_dual_mov_b32 v7, 0 :: v_dual_and_b32 v34, 2, v0
	v_dual_mov_b32 v3, v1 :: v_dual_and_b32 v2, -3, v0
	v_dual_mov_b32 v8, 2 :: v_dual_mov_b32 v9, 1
	s_mov_b64 s[10:11], 0x4d
	s_branch .LBB2_36
.LBB2_35:                               ;   in Loop: Header=BB2_36 Depth=1
	s_wait_alu 0xfffe
	s_or_b32 exec_lo, exec_lo, s16
	s_sub_nc_u64 s[10:11], s[10:11], s[12:13]
	s_add_nc_u64 s[8:9], s[8:9], s[12:13]
	s_wait_alu 0xfffe
	s_cmp_lg_u64 s[10:11], 0
	s_cbranch_scc0 .LBB2_111
.LBB2_36:                               ; =>This Loop Header: Depth=1
                                        ;     Child Loop BB2_39 Depth 2
                                        ;     Child Loop BB2_46 Depth 2
	;; [unrolled: 1-line block ×11, first 2 shown]
	s_wait_alu 0xfffe
	v_cmp_lt_u64_e64 s3, s[10:11], 56
	v_cmp_gt_u64_e64 s14, s[10:11], 7
	s_and_b32 s3, s3, exec_lo
	s_cselect_b32 s13, s11, 0
	s_cselect_b32 s12, s10, 56
	s_and_b32 vcc_lo, exec_lo, s14
	s_wait_alu 0xfffe
	s_cbranch_vccnz .LBB2_41
; %bb.37:                               ;   in Loop: Header=BB2_36 Depth=1
	v_mov_b32_e32 v4, 0
	v_mov_b32_e32 v5, 0
	s_cmp_eq_u64 s[10:11], 0
	s_cbranch_scc1 .LBB2_40
; %bb.38:                               ;   in Loop: Header=BB2_36 Depth=1
	s_mov_b64 s[14:15], 0
	s_mov_b64 s[16:17], 0
.LBB2_39:                               ;   Parent Loop BB2_36 Depth=1
                                        ; =>  This Inner Loop Header: Depth=2
	s_wait_alu 0xfffe
	s_add_nc_u64 s[18:19], s[8:9], s[16:17]
	s_add_nc_u64 s[16:17], s[16:17], 1
	global_load_u8 v6, v7, s[18:19]
	s_wait_alu 0xfffe
	s_cmp_lg_u32 s12, s16
	s_wait_loadcnt 0x0
	v_and_b32_e32 v6, 0xffff, v6
	s_delay_alu instid0(VALU_DEP_1) | instskip(SKIP_1) | instid1(VALU_DEP_1)
	v_lshlrev_b64_e32 v[10:11], s14, v[6:7]
	s_add_nc_u64 s[14:15], s[14:15], 8
	v_or_b32_e32 v4, v10, v4
	s_delay_alu instid0(VALU_DEP_2)
	v_or_b32_e32 v5, v11, v5
	s_cbranch_scc1 .LBB2_39
.LBB2_40:                               ;   in Loop: Header=BB2_36 Depth=1
	s_mov_b64 s[16:17], s[8:9]
	s_mov_b32 s3, 0
	s_cbranch_execz .LBB2_42
	s_branch .LBB2_43
.LBB2_41:                               ;   in Loop: Header=BB2_36 Depth=1
	s_add_nc_u64 s[16:17], s[8:9], 8
	s_mov_b32 s3, 0
.LBB2_42:                               ;   in Loop: Header=BB2_36 Depth=1
	global_load_b64 v[4:5], v7, s[8:9]
	s_add_co_i32 s3, s12, -8
.LBB2_43:                               ;   in Loop: Header=BB2_36 Depth=1
	s_wait_alu 0xfffe
	s_cmp_gt_u32 s3, 7
	s_cbranch_scc1 .LBB2_48
; %bb.44:                               ;   in Loop: Header=BB2_36 Depth=1
	v_mov_b32_e32 v10, 0
	v_mov_b32_e32 v11, 0
	s_cmp_eq_u32 s3, 0
	s_cbranch_scc1 .LBB2_47
; %bb.45:                               ;   in Loop: Header=BB2_36 Depth=1
	s_mov_b64 s[14:15], 0
	s_mov_b64 s[18:19], 0
.LBB2_46:                               ;   Parent Loop BB2_36 Depth=1
                                        ; =>  This Inner Loop Header: Depth=2
	s_wait_alu 0xfffe
	s_add_nc_u64 s[24:25], s[16:17], s[18:19]
	s_add_nc_u64 s[18:19], s[18:19], 1
	global_load_u8 v6, v7, s[24:25]
	s_wait_alu 0xfffe
	s_cmp_lg_u32 s3, s18
	s_wait_loadcnt 0x0
	v_and_b32_e32 v6, 0xffff, v6
	s_delay_alu instid0(VALU_DEP_1) | instskip(SKIP_1) | instid1(VALU_DEP_1)
	v_lshlrev_b64_e32 v[12:13], s14, v[6:7]
	s_add_nc_u64 s[14:15], s[14:15], 8
	v_or_b32_e32 v10, v12, v10
	s_delay_alu instid0(VALU_DEP_2)
	v_or_b32_e32 v11, v13, v11
	s_cbranch_scc1 .LBB2_46
.LBB2_47:                               ;   in Loop: Header=BB2_36 Depth=1
	s_mov_b64 s[14:15], s[16:17]
	s_mov_b32 s24, 0
	s_cbranch_execz .LBB2_49
	s_branch .LBB2_50
.LBB2_48:                               ;   in Loop: Header=BB2_36 Depth=1
	s_add_nc_u64 s[14:15], s[16:17], 8
                                        ; implicit-def: $vgpr10_vgpr11
	s_mov_b32 s24, 0
.LBB2_49:                               ;   in Loop: Header=BB2_36 Depth=1
	global_load_b64 v[10:11], v7, s[16:17]
	s_add_co_i32 s24, s3, -8
.LBB2_50:                               ;   in Loop: Header=BB2_36 Depth=1
	s_delay_alu instid0(SALU_CYCLE_1)
	s_cmp_gt_u32 s24, 7
	s_cbranch_scc1 .LBB2_55
; %bb.51:                               ;   in Loop: Header=BB2_36 Depth=1
	v_mov_b32_e32 v12, 0
	v_mov_b32_e32 v13, 0
	s_cmp_eq_u32 s24, 0
	s_cbranch_scc1 .LBB2_54
; %bb.52:                               ;   in Loop: Header=BB2_36 Depth=1
	s_mov_b64 s[16:17], 0
	s_mov_b64 s[18:19], 0
.LBB2_53:                               ;   Parent Loop BB2_36 Depth=1
                                        ; =>  This Inner Loop Header: Depth=2
	s_wait_alu 0xfffe
	s_add_nc_u64 s[26:27], s[14:15], s[18:19]
	s_add_nc_u64 s[18:19], s[18:19], 1
	global_load_u8 v6, v7, s[26:27]
	s_wait_alu 0xfffe
	s_cmp_lg_u32 s24, s18
	s_wait_loadcnt 0x0
	v_and_b32_e32 v6, 0xffff, v6
	s_delay_alu instid0(VALU_DEP_1) | instskip(SKIP_1) | instid1(VALU_DEP_1)
	v_lshlrev_b64_e32 v[14:15], s16, v[6:7]
	s_add_nc_u64 s[16:17], s[16:17], 8
	v_or_b32_e32 v12, v14, v12
	s_delay_alu instid0(VALU_DEP_2)
	v_or_b32_e32 v13, v15, v13
	s_cbranch_scc1 .LBB2_53
.LBB2_54:                               ;   in Loop: Header=BB2_36 Depth=1
	s_wait_alu 0xfffe
	s_mov_b64 s[16:17], s[14:15]
	s_mov_b32 s3, 0
	s_cbranch_execz .LBB2_56
	s_branch .LBB2_57
.LBB2_55:                               ;   in Loop: Header=BB2_36 Depth=1
	s_wait_alu 0xfffe
	s_add_nc_u64 s[16:17], s[14:15], 8
	s_mov_b32 s3, 0
.LBB2_56:                               ;   in Loop: Header=BB2_36 Depth=1
	global_load_b64 v[12:13], v7, s[14:15]
	s_add_co_i32 s3, s24, -8
.LBB2_57:                               ;   in Loop: Header=BB2_36 Depth=1
	s_wait_alu 0xfffe
	s_cmp_gt_u32 s3, 7
	s_cbranch_scc1 .LBB2_62
; %bb.58:                               ;   in Loop: Header=BB2_36 Depth=1
	v_mov_b32_e32 v14, 0
	v_mov_b32_e32 v15, 0
	s_cmp_eq_u32 s3, 0
	s_cbranch_scc1 .LBB2_61
; %bb.59:                               ;   in Loop: Header=BB2_36 Depth=1
	s_mov_b64 s[14:15], 0
	s_mov_b64 s[18:19], 0
.LBB2_60:                               ;   Parent Loop BB2_36 Depth=1
                                        ; =>  This Inner Loop Header: Depth=2
	s_wait_alu 0xfffe
	s_add_nc_u64 s[24:25], s[16:17], s[18:19]
	s_add_nc_u64 s[18:19], s[18:19], 1
	global_load_u8 v6, v7, s[24:25]
	s_wait_alu 0xfffe
	s_cmp_lg_u32 s3, s18
	s_wait_loadcnt 0x0
	v_and_b32_e32 v6, 0xffff, v6
	s_delay_alu instid0(VALU_DEP_1) | instskip(SKIP_1) | instid1(VALU_DEP_1)
	v_lshlrev_b64_e32 v[16:17], s14, v[6:7]
	s_add_nc_u64 s[14:15], s[14:15], 8
	v_or_b32_e32 v14, v16, v14
	s_delay_alu instid0(VALU_DEP_2)
	v_or_b32_e32 v15, v17, v15
	s_cbranch_scc1 .LBB2_60
.LBB2_61:                               ;   in Loop: Header=BB2_36 Depth=1
	s_mov_b64 s[14:15], s[16:17]
	s_mov_b32 s24, 0
	s_cbranch_execz .LBB2_63
	s_branch .LBB2_64
.LBB2_62:                               ;   in Loop: Header=BB2_36 Depth=1
	s_add_nc_u64 s[14:15], s[16:17], 8
                                        ; implicit-def: $vgpr14_vgpr15
	s_mov_b32 s24, 0
.LBB2_63:                               ;   in Loop: Header=BB2_36 Depth=1
	global_load_b64 v[14:15], v7, s[16:17]
	s_add_co_i32 s24, s3, -8
.LBB2_64:                               ;   in Loop: Header=BB2_36 Depth=1
	s_delay_alu instid0(SALU_CYCLE_1)
	s_cmp_gt_u32 s24, 7
	s_cbranch_scc1 .LBB2_69
; %bb.65:                               ;   in Loop: Header=BB2_36 Depth=1
	v_mov_b32_e32 v16, 0
	v_mov_b32_e32 v17, 0
	s_cmp_eq_u32 s24, 0
	s_cbranch_scc1 .LBB2_68
; %bb.66:                               ;   in Loop: Header=BB2_36 Depth=1
	s_mov_b64 s[16:17], 0
	s_mov_b64 s[18:19], 0
.LBB2_67:                               ;   Parent Loop BB2_36 Depth=1
                                        ; =>  This Inner Loop Header: Depth=2
	s_wait_alu 0xfffe
	s_add_nc_u64 s[26:27], s[14:15], s[18:19]
	s_add_nc_u64 s[18:19], s[18:19], 1
	global_load_u8 v6, v7, s[26:27]
	s_wait_alu 0xfffe
	s_cmp_lg_u32 s24, s18
	s_wait_loadcnt 0x0
	v_and_b32_e32 v6, 0xffff, v6
	s_delay_alu instid0(VALU_DEP_1) | instskip(SKIP_1) | instid1(VALU_DEP_1)
	v_lshlrev_b64_e32 v[18:19], s16, v[6:7]
	s_add_nc_u64 s[16:17], s[16:17], 8
	v_or_b32_e32 v16, v18, v16
	s_delay_alu instid0(VALU_DEP_2)
	v_or_b32_e32 v17, v19, v17
	s_cbranch_scc1 .LBB2_67
.LBB2_68:                               ;   in Loop: Header=BB2_36 Depth=1
	s_wait_alu 0xfffe
	s_mov_b64 s[16:17], s[14:15]
	s_mov_b32 s3, 0
	s_cbranch_execz .LBB2_70
	s_branch .LBB2_71
.LBB2_69:                               ;   in Loop: Header=BB2_36 Depth=1
	s_wait_alu 0xfffe
	s_add_nc_u64 s[16:17], s[14:15], 8
	s_mov_b32 s3, 0
.LBB2_70:                               ;   in Loop: Header=BB2_36 Depth=1
	global_load_b64 v[16:17], v7, s[14:15]
	s_add_co_i32 s3, s24, -8
.LBB2_71:                               ;   in Loop: Header=BB2_36 Depth=1
	s_wait_alu 0xfffe
	s_cmp_gt_u32 s3, 7
	s_cbranch_scc1 .LBB2_76
; %bb.72:                               ;   in Loop: Header=BB2_36 Depth=1
	v_mov_b32_e32 v18, 0
	v_mov_b32_e32 v19, 0
	s_cmp_eq_u32 s3, 0
	s_cbranch_scc1 .LBB2_75
; %bb.73:                               ;   in Loop: Header=BB2_36 Depth=1
	s_mov_b64 s[14:15], 0
	s_mov_b64 s[18:19], 0
.LBB2_74:                               ;   Parent Loop BB2_36 Depth=1
                                        ; =>  This Inner Loop Header: Depth=2
	s_wait_alu 0xfffe
	s_add_nc_u64 s[24:25], s[16:17], s[18:19]
	s_add_nc_u64 s[18:19], s[18:19], 1
	global_load_u8 v6, v7, s[24:25]
	s_wait_alu 0xfffe
	s_cmp_lg_u32 s3, s18
	s_wait_loadcnt 0x0
	v_and_b32_e32 v6, 0xffff, v6
	s_delay_alu instid0(VALU_DEP_1) | instskip(SKIP_1) | instid1(VALU_DEP_1)
	v_lshlrev_b64_e32 v[20:21], s14, v[6:7]
	s_add_nc_u64 s[14:15], s[14:15], 8
	v_or_b32_e32 v18, v20, v18
	s_delay_alu instid0(VALU_DEP_2)
	v_or_b32_e32 v19, v21, v19
	s_cbranch_scc1 .LBB2_74
.LBB2_75:                               ;   in Loop: Header=BB2_36 Depth=1
	s_mov_b64 s[14:15], s[16:17]
	s_mov_b32 s24, 0
	s_cbranch_execz .LBB2_77
	s_branch .LBB2_78
.LBB2_76:                               ;   in Loop: Header=BB2_36 Depth=1
	s_add_nc_u64 s[14:15], s[16:17], 8
                                        ; implicit-def: $vgpr18_vgpr19
	s_mov_b32 s24, 0
.LBB2_77:                               ;   in Loop: Header=BB2_36 Depth=1
	global_load_b64 v[18:19], v7, s[16:17]
	s_add_co_i32 s24, s3, -8
.LBB2_78:                               ;   in Loop: Header=BB2_36 Depth=1
	s_delay_alu instid0(SALU_CYCLE_1)
	s_cmp_gt_u32 s24, 7
	s_cbranch_scc1 .LBB2_83
; %bb.79:                               ;   in Loop: Header=BB2_36 Depth=1
	v_mov_b32_e32 v20, 0
	v_mov_b32_e32 v21, 0
	s_cmp_eq_u32 s24, 0
	s_cbranch_scc1 .LBB2_82
; %bb.80:                               ;   in Loop: Header=BB2_36 Depth=1
	s_mov_b64 s[16:17], 0
	s_wait_alu 0xfffe
	s_mov_b64 s[18:19], s[14:15]
.LBB2_81:                               ;   Parent Loop BB2_36 Depth=1
                                        ; =>  This Inner Loop Header: Depth=2
	global_load_u8 v6, v7, s[18:19]
	s_add_co_i32 s24, s24, -1
	s_wait_alu 0xfffe
	s_add_nc_u64 s[18:19], s[18:19], 1
	s_cmp_lg_u32 s24, 0
	s_wait_loadcnt 0x0
	v_and_b32_e32 v6, 0xffff, v6
	s_delay_alu instid0(VALU_DEP_1) | instskip(SKIP_1) | instid1(VALU_DEP_1)
	v_lshlrev_b64_e32 v[22:23], s16, v[6:7]
	s_add_nc_u64 s[16:17], s[16:17], 8
	v_or_b32_e32 v20, v22, v20
	s_delay_alu instid0(VALU_DEP_2)
	v_or_b32_e32 v21, v23, v21
	s_cbranch_scc1 .LBB2_81
.LBB2_82:                               ;   in Loop: Header=BB2_36 Depth=1
	s_cbranch_execz .LBB2_84
	s_branch .LBB2_85
.LBB2_83:                               ;   in Loop: Header=BB2_36 Depth=1
.LBB2_84:                               ;   in Loop: Header=BB2_36 Depth=1
	global_load_b64 v[20:21], v7, s[14:15]
.LBB2_85:                               ;   in Loop: Header=BB2_36 Depth=1
	v_readfirstlane_b32 s3, v32
	v_mov_b32_e32 v26, 0
	v_mov_b32_e32 v27, 0
	s_wait_alu 0xf1ff
	s_delay_alu instid0(VALU_DEP_3)
	v_cmp_eq_u32_e64 s3, s3, v32
	s_and_saveexec_b32 s14, s3
	s_cbranch_execz .LBB2_91
; %bb.86:                               ;   in Loop: Header=BB2_36 Depth=1
	global_load_b64 v[24:25], v7, s[6:7] offset:24 scope:SCOPE_SYS
	s_wait_loadcnt 0x0
	global_inv scope:SCOPE_SYS
	s_clause 0x1
	global_load_b64 v[22:23], v7, s[6:7] offset:40
	global_load_b64 v[26:27], v7, s[6:7]
	s_mov_b32 s15, exec_lo
	s_wait_loadcnt 0x1
	v_and_b32_e32 v6, v23, v25
	v_and_b32_e32 v22, v22, v24
	s_delay_alu instid0(VALU_DEP_2) | instskip(NEXT) | instid1(VALU_DEP_2)
	v_mul_lo_u32 v6, 24, v6
	v_mul_lo_u32 v23, 0, v22
	v_mul_hi_u32 v30, 24, v22
	v_mul_lo_u32 v22, 24, v22
	s_delay_alu instid0(VALU_DEP_3) | instskip(SKIP_1) | instid1(VALU_DEP_2)
	v_add_nc_u32_e32 v6, v6, v23
	s_wait_loadcnt 0x0
	v_add_co_u32 v22, vcc_lo, v26, v22
	s_delay_alu instid0(VALU_DEP_2) | instskip(SKIP_1) | instid1(VALU_DEP_1)
	v_add_nc_u32_e32 v6, v6, v30
	s_wait_alu 0xfffd
	v_add_co_ci_u32_e64 v23, null, v27, v6, vcc_lo
	global_load_b64 v[22:23], v[22:23], off scope:SCOPE_SYS
	s_wait_loadcnt 0x0
	global_atomic_cmpswap_b64 v[26:27], v7, v[22:25], s[6:7] offset:24 th:TH_ATOMIC_RETURN scope:SCOPE_SYS
	s_wait_loadcnt 0x0
	global_inv scope:SCOPE_SYS
	v_cmpx_ne_u64_e64 v[26:27], v[24:25]
	s_cbranch_execz .LBB2_90
; %bb.87:                               ;   in Loop: Header=BB2_36 Depth=1
	s_mov_b32 s16, 0
.LBB2_88:                               ;   Parent Loop BB2_36 Depth=1
                                        ; =>  This Inner Loop Header: Depth=2
	s_sleep 1
	s_clause 0x1
	global_load_b64 v[22:23], v7, s[6:7] offset:40
	global_load_b64 v[30:31], v7, s[6:7]
	v_dual_mov_b32 v24, v26 :: v_dual_mov_b32 v25, v27
	s_wait_loadcnt 0x1
	s_delay_alu instid0(VALU_DEP_1) | instskip(NEXT) | instid1(VALU_DEP_2)
	v_and_b32_e32 v6, v22, v24
	v_and_b32_e32 v22, v23, v25
	s_wait_loadcnt 0x0
	s_delay_alu instid0(VALU_DEP_2) | instskip(NEXT) | instid1(VALU_DEP_1)
	v_mad_co_u64_u32 v[26:27], null, v6, 24, v[30:31]
	v_mov_b32_e32 v6, v27
	s_delay_alu instid0(VALU_DEP_1) | instskip(NEXT) | instid1(VALU_DEP_1)
	v_mad_co_u64_u32 v[22:23], null, v22, 24, v[6:7]
	v_mov_b32_e32 v27, v22
	global_load_b64 v[22:23], v[26:27], off scope:SCOPE_SYS
	s_wait_loadcnt 0x0
	global_atomic_cmpswap_b64 v[26:27], v7, v[22:25], s[6:7] offset:24 th:TH_ATOMIC_RETURN scope:SCOPE_SYS
	s_wait_loadcnt 0x0
	global_inv scope:SCOPE_SYS
	v_cmp_eq_u64_e32 vcc_lo, v[26:27], v[24:25]
	s_wait_alu 0xfffe
	s_or_b32 s16, vcc_lo, s16
	s_wait_alu 0xfffe
	s_and_not1_b32 exec_lo, exec_lo, s16
	s_cbranch_execnz .LBB2_88
; %bb.89:                               ;   in Loop: Header=BB2_36 Depth=1
	s_or_b32 exec_lo, exec_lo, s16
.LBB2_90:                               ;   in Loop: Header=BB2_36 Depth=1
	s_wait_alu 0xfffe
	s_or_b32 exec_lo, exec_lo, s15
.LBB2_91:                               ;   in Loop: Header=BB2_36 Depth=1
	s_wait_alu 0xfffe
	s_or_b32 exec_lo, exec_lo, s14
	s_clause 0x1
	global_load_b64 v[30:31], v7, s[6:7] offset:40
	global_load_b128 v[22:25], v7, s[6:7]
	v_readfirstlane_b32 s15, v27
	v_readfirstlane_b32 s14, v26
	s_mov_b32 s16, exec_lo
	s_wait_loadcnt 0x1
	s_wait_alu 0xf1ff
	v_and_b32_e32 v31, s15, v31
	v_and_b32_e32 v30, s14, v30
	s_delay_alu instid0(VALU_DEP_2) | instskip(NEXT) | instid1(VALU_DEP_2)
	v_mul_lo_u32 v6, 24, v31
	v_mul_lo_u32 v26, 0, v30
	v_mul_hi_u32 v27, 24, v30
	v_mul_lo_u32 v35, 24, v30
	s_delay_alu instid0(VALU_DEP_3) | instskip(SKIP_1) | instid1(VALU_DEP_2)
	v_add_nc_u32_e32 v6, v6, v26
	s_wait_loadcnt 0x0
	v_add_co_u32 v26, vcc_lo, v22, v35
	s_delay_alu instid0(VALU_DEP_2) | instskip(SKIP_1) | instid1(VALU_DEP_1)
	v_add_nc_u32_e32 v6, v6, v27
	s_wait_alu 0xfffd
	v_add_co_ci_u32_e64 v27, null, v23, v6, vcc_lo
	s_and_saveexec_b32 s17, s3
	s_cbranch_execz .LBB2_93
; %bb.92:                               ;   in Loop: Header=BB2_36 Depth=1
	s_wait_alu 0xfffe
	v_mov_b32_e32 v6, s16
	global_store_b128 v[26:27], v[6:9], off offset:8
.LBB2_93:                               ;   in Loop: Header=BB2_36 Depth=1
	s_wait_alu 0xfffe
	s_or_b32 exec_lo, exec_lo, s17
	v_cmp_lt_u64_e64 vcc_lo, s[10:11], 57
	v_lshlrev_b64_e32 v[30:31], 12, v[30:31]
	v_and_b32_e32 v2, 0xffffff1f, v2
	s_lshl_b32 s16, s12, 2
	s_wait_alu 0xfffe
	s_add_co_i32 s16, s16, 28
	s_wait_alu 0xfffd
	v_cndmask_b32_e32 v6, 0, v34, vcc_lo
	v_add_co_u32 v24, vcc_lo, v24, v30
	s_wait_alu 0xfffd
	v_add_co_ci_u32_e64 v25, null, v25, v31, vcc_lo
	s_delay_alu instid0(VALU_DEP_3) | instskip(NEXT) | instid1(VALU_DEP_2)
	v_or_b32_e32 v2, v2, v6
	v_readfirstlane_b32 s17, v25
	s_wait_alu 0xfffe
	s_delay_alu instid0(VALU_DEP_2)
	v_and_or_b32 v2, 0x1e0, s16, v2
	v_readfirstlane_b32 s16, v24
	s_clause 0x3
	global_store_b128 v28, v[2:5], s[16:17]
	global_store_b128 v28, v[10:13], s[16:17] offset:16
	global_store_b128 v28, v[14:17], s[16:17] offset:32
	;; [unrolled: 1-line block ×3, first 2 shown]
	s_and_saveexec_b32 s16, s3
	s_cbranch_execz .LBB2_101
; %bb.94:                               ;   in Loop: Header=BB2_36 Depth=1
	s_clause 0x1
	global_load_b64 v[14:15], v7, s[6:7] offset:32 scope:SCOPE_SYS
	global_load_b64 v[2:3], v7, s[6:7] offset:40
	s_mov_b32 s17, exec_lo
	v_dual_mov_b32 v12, s14 :: v_dual_mov_b32 v13, s15
	s_wait_loadcnt 0x0
	v_and_b32_e32 v2, s14, v2
	v_and_b32_e32 v3, s15, v3
	s_delay_alu instid0(VALU_DEP_2) | instskip(NEXT) | instid1(VALU_DEP_2)
	v_mul_lo_u32 v4, 0, v2
	v_mul_lo_u32 v3, 24, v3
	v_mul_hi_u32 v5, 24, v2
	v_mul_lo_u32 v2, 24, v2
	s_delay_alu instid0(VALU_DEP_3) | instskip(NEXT) | instid1(VALU_DEP_2)
	v_add_nc_u32_e32 v3, v3, v4
	v_add_co_u32 v10, vcc_lo, v22, v2
	s_delay_alu instid0(VALU_DEP_2) | instskip(SKIP_1) | instid1(VALU_DEP_1)
	v_add_nc_u32_e32 v3, v3, v5
	s_wait_alu 0xfffd
	v_add_co_ci_u32_e64 v11, null, v23, v3, vcc_lo
	global_store_b64 v[10:11], v[14:15], off
	global_wb scope:SCOPE_SYS
	s_wait_storecnt 0x0
	global_atomic_cmpswap_b64 v[4:5], v7, v[12:15], s[6:7] offset:32 th:TH_ATOMIC_RETURN scope:SCOPE_SYS
	s_wait_loadcnt 0x0
	v_cmpx_ne_u64_e64 v[4:5], v[14:15]
	s_cbranch_execz .LBB2_97
; %bb.95:                               ;   in Loop: Header=BB2_36 Depth=1
	s_mov_b32 s18, 0
.LBB2_96:                               ;   Parent Loop BB2_36 Depth=1
                                        ; =>  This Inner Loop Header: Depth=2
	v_dual_mov_b32 v2, s14 :: v_dual_mov_b32 v3, s15
	s_sleep 1
	global_store_b64 v[10:11], v[4:5], off
	global_wb scope:SCOPE_SYS
	s_wait_storecnt 0x0
	global_atomic_cmpswap_b64 v[2:3], v7, v[2:5], s[6:7] offset:32 th:TH_ATOMIC_RETURN scope:SCOPE_SYS
	s_wait_loadcnt 0x0
	v_cmp_eq_u64_e32 vcc_lo, v[2:3], v[4:5]
	v_dual_mov_b32 v5, v3 :: v_dual_mov_b32 v4, v2
	s_wait_alu 0xfffe
	s_or_b32 s18, vcc_lo, s18
	s_wait_alu 0xfffe
	s_and_not1_b32 exec_lo, exec_lo, s18
	s_cbranch_execnz .LBB2_96
.LBB2_97:                               ;   in Loop: Header=BB2_36 Depth=1
	s_wait_alu 0xfffe
	s_or_b32 exec_lo, exec_lo, s17
	global_load_b64 v[2:3], v7, s[6:7] offset:16
	s_mov_b32 s18, exec_lo
	s_mov_b32 s17, exec_lo
	s_wait_alu 0xfffe
	v_mbcnt_lo_u32_b32 v4, s18, 0
	s_delay_alu instid0(VALU_DEP_1)
	v_cmpx_eq_u32_e32 0, v4
	s_cbranch_execz .LBB2_99
; %bb.98:                               ;   in Loop: Header=BB2_36 Depth=1
	s_bcnt1_i32_b32 s18, s18
	s_wait_alu 0xfffe
	v_mov_b32_e32 v6, s18
	global_wb scope:SCOPE_SYS
	s_wait_loadcnt 0x0
	s_wait_storecnt 0x0
	global_atomic_add_u64 v[2:3], v[6:7], off offset:8 scope:SCOPE_SYS
.LBB2_99:                               ;   in Loop: Header=BB2_36 Depth=1
	s_wait_alu 0xfffe
	s_or_b32 exec_lo, exec_lo, s17
	s_wait_loadcnt 0x0
	global_load_b64 v[4:5], v[2:3], off offset:16
	s_wait_loadcnt 0x0
	v_cmp_eq_u64_e32 vcc_lo, 0, v[4:5]
	s_cbranch_vccnz .LBB2_101
; %bb.100:                              ;   in Loop: Header=BB2_36 Depth=1
	global_load_b32 v6, v[2:3], off offset:24
	s_wait_loadcnt 0x0
	v_readfirstlane_b32 s17, v6
	global_wb scope:SCOPE_SYS
	s_wait_storecnt 0x0
	global_store_b64 v[4:5], v[6:7], off scope:SCOPE_SYS
	s_and_b32 m0, s17, 0xffffff
	s_sendmsg sendmsg(MSG_INTERRUPT)
.LBB2_101:                              ;   in Loop: Header=BB2_36 Depth=1
	s_wait_alu 0xfffe
	s_or_b32 exec_lo, exec_lo, s16
	v_add_co_u32 v2, vcc_lo, v24, v28
	s_wait_alu 0xfffd
	v_add_co_ci_u32_e64 v3, null, 0, v25, vcc_lo
	s_branch .LBB2_105
.LBB2_102:                              ;   in Loop: Header=BB2_105 Depth=2
	s_wait_alu 0xfffe
	s_or_b32 exec_lo, exec_lo, s16
	s_delay_alu instid0(VALU_DEP_1)
	v_readfirstlane_b32 s16, v4
	s_cmp_eq_u32 s16, 0
	s_cbranch_scc1 .LBB2_104
; %bb.103:                              ;   in Loop: Header=BB2_105 Depth=2
	s_sleep 1
	s_cbranch_execnz .LBB2_105
	s_branch .LBB2_107
.LBB2_104:                              ;   in Loop: Header=BB2_36 Depth=1
	s_branch .LBB2_107
.LBB2_105:                              ;   Parent Loop BB2_36 Depth=1
                                        ; =>  This Inner Loop Header: Depth=2
	v_mov_b32_e32 v4, 1
	s_and_saveexec_b32 s16, s3
	s_cbranch_execz .LBB2_102
; %bb.106:                              ;   in Loop: Header=BB2_105 Depth=2
	global_load_b32 v4, v[26:27], off offset:20 scope:SCOPE_SYS
	s_wait_loadcnt 0x0
	global_inv scope:SCOPE_SYS
	v_and_b32_e32 v4, 1, v4
	s_branch .LBB2_102
.LBB2_107:                              ;   in Loop: Header=BB2_36 Depth=1
	global_load_b64 v[2:3], v[2:3], off
	s_and_saveexec_b32 s16, s3
	s_cbranch_execz .LBB2_35
; %bb.108:                              ;   in Loop: Header=BB2_36 Depth=1
	s_clause 0x2
	global_load_b64 v[4:5], v7, s[6:7] offset:40
	global_load_b64 v[14:15], v7, s[6:7] offset:24 scope:SCOPE_SYS
	global_load_b64 v[10:11], v7, s[6:7]
	s_wait_loadcnt 0x2
	v_readfirstlane_b32 s18, v4
	v_readfirstlane_b32 s19, v5
	s_add_nc_u64 s[24:25], s[18:19], 1
	s_delay_alu instid0(SALU_CYCLE_1)
	s_add_nc_u64 s[14:15], s[24:25], s[14:15]
	s_wait_alu 0xfffe
	s_cmp_eq_u64 s[14:15], 0
	s_cselect_b32 s15, s25, s15
	s_cselect_b32 s14, s24, s14
	s_wait_alu 0xfffe
	v_dual_mov_b32 v13, s15 :: v_dual_mov_b32 v12, s14
	s_and_b64 s[18:19], s[14:15], s[18:19]
	s_wait_alu 0xfffe
	s_mul_u64 s[18:19], s[18:19], 24
	s_wait_loadcnt 0x0
	s_wait_alu 0xfffe
	v_add_co_u32 v4, vcc_lo, v10, s18
	s_wait_alu 0xfffd
	v_add_co_ci_u32_e64 v5, null, s19, v11, vcc_lo
	global_store_b64 v[4:5], v[14:15], off
	global_wb scope:SCOPE_SYS
	s_wait_storecnt 0x0
	global_atomic_cmpswap_b64 v[12:13], v7, v[12:15], s[6:7] offset:24 th:TH_ATOMIC_RETURN scope:SCOPE_SYS
	s_wait_loadcnt 0x0
	v_cmp_ne_u64_e32 vcc_lo, v[12:13], v[14:15]
	s_and_b32 exec_lo, exec_lo, vcc_lo
	s_cbranch_execz .LBB2_35
; %bb.109:                              ;   in Loop: Header=BB2_36 Depth=1
	s_mov_b32 s3, 0
.LBB2_110:                              ;   Parent Loop BB2_36 Depth=1
                                        ; =>  This Inner Loop Header: Depth=2
	v_dual_mov_b32 v10, s14 :: v_dual_mov_b32 v11, s15
	s_sleep 1
	global_store_b64 v[4:5], v[12:13], off
	global_wb scope:SCOPE_SYS
	s_wait_storecnt 0x0
	global_atomic_cmpswap_b64 v[10:11], v7, v[10:13], s[6:7] offset:24 th:TH_ATOMIC_RETURN scope:SCOPE_SYS
	s_wait_loadcnt 0x0
	v_cmp_eq_u64_e32 vcc_lo, v[10:11], v[12:13]
	v_dual_mov_b32 v13, v11 :: v_dual_mov_b32 v12, v10
	s_wait_alu 0xfffe
	s_or_b32 s3, vcc_lo, s3
	s_wait_alu 0xfffe
	s_and_not1_b32 exec_lo, exec_lo, s3
	s_cbranch_execnz .LBB2_110
	s_branch .LBB2_35
.LBB2_111:
	s_branch .LBB2_139
.LBB2_112:
                                        ; implicit-def: $vgpr2_vgpr3
	s_cbranch_execz .LBB2_139
; %bb.113:
	v_readfirstlane_b32 s3, v32
	v_mov_b32_e32 v8, 0
	v_mov_b32_e32 v9, 0
	s_wait_alu 0xf1ff
	s_delay_alu instid0(VALU_DEP_3)
	v_cmp_eq_u32_e64 s3, s3, v32
	s_and_saveexec_b32 s8, s3
	s_cbranch_execz .LBB2_119
; %bb.114:
	s_wait_loadcnt 0x0
	v_mov_b32_e32 v2, 0
	s_mov_b32 s9, exec_lo
	global_load_b64 v[5:6], v2, s[6:7] offset:24 scope:SCOPE_SYS
	s_wait_loadcnt 0x0
	global_inv scope:SCOPE_SYS
	s_clause 0x1
	global_load_b64 v[3:4], v2, s[6:7] offset:40
	global_load_b64 v[7:8], v2, s[6:7]
	s_wait_loadcnt 0x1
	v_and_b32_e32 v4, v4, v6
	v_and_b32_e32 v3, v3, v5
	s_delay_alu instid0(VALU_DEP_2) | instskip(NEXT) | instid1(VALU_DEP_2)
	v_mul_lo_u32 v4, 24, v4
	v_mul_lo_u32 v9, 0, v3
	v_mul_hi_u32 v10, 24, v3
	v_mul_lo_u32 v3, 24, v3
	s_delay_alu instid0(VALU_DEP_3) | instskip(SKIP_1) | instid1(VALU_DEP_2)
	v_add_nc_u32_e32 v4, v4, v9
	s_wait_loadcnt 0x0
	v_add_co_u32 v3, vcc_lo, v7, v3
	s_delay_alu instid0(VALU_DEP_2) | instskip(SKIP_1) | instid1(VALU_DEP_1)
	v_add_nc_u32_e32 v4, v4, v10
	s_wait_alu 0xfffd
	v_add_co_ci_u32_e64 v4, null, v8, v4, vcc_lo
	global_load_b64 v[3:4], v[3:4], off scope:SCOPE_SYS
	s_wait_loadcnt 0x0
	global_atomic_cmpswap_b64 v[8:9], v2, v[3:6], s[6:7] offset:24 th:TH_ATOMIC_RETURN scope:SCOPE_SYS
	s_wait_loadcnt 0x0
	global_inv scope:SCOPE_SYS
	v_cmpx_ne_u64_e64 v[8:9], v[5:6]
	s_cbranch_execz .LBB2_118
; %bb.115:
	s_mov_b32 s10, 0
.LBB2_116:                              ; =>This Inner Loop Header: Depth=1
	s_sleep 1
	s_clause 0x1
	global_load_b64 v[3:4], v2, s[6:7] offset:40
	global_load_b64 v[10:11], v2, s[6:7]
	v_dual_mov_b32 v5, v8 :: v_dual_mov_b32 v6, v9
	s_wait_loadcnt 0x1
	s_delay_alu instid0(VALU_DEP_1) | instskip(NEXT) | instid1(VALU_DEP_2)
	v_and_b32_e32 v3, v3, v5
	v_and_b32_e32 v4, v4, v6
	s_wait_loadcnt 0x0
	s_delay_alu instid0(VALU_DEP_2) | instskip(NEXT) | instid1(VALU_DEP_1)
	v_mad_co_u64_u32 v[7:8], null, v3, 24, v[10:11]
	v_mov_b32_e32 v3, v8
	s_delay_alu instid0(VALU_DEP_1) | instskip(NEXT) | instid1(VALU_DEP_1)
	v_mad_co_u64_u32 v[3:4], null, v4, 24, v[3:4]
	v_mov_b32_e32 v8, v3
	global_load_b64 v[3:4], v[7:8], off scope:SCOPE_SYS
	s_wait_loadcnt 0x0
	global_atomic_cmpswap_b64 v[8:9], v2, v[3:6], s[6:7] offset:24 th:TH_ATOMIC_RETURN scope:SCOPE_SYS
	s_wait_loadcnt 0x0
	global_inv scope:SCOPE_SYS
	v_cmp_eq_u64_e32 vcc_lo, v[8:9], v[5:6]
	s_wait_alu 0xfffe
	s_or_b32 s10, vcc_lo, s10
	s_wait_alu 0xfffe
	s_and_not1_b32 exec_lo, exec_lo, s10
	s_cbranch_execnz .LBB2_116
; %bb.117:
	s_or_b32 exec_lo, exec_lo, s10
.LBB2_118:
	s_wait_alu 0xfffe
	s_or_b32 exec_lo, exec_lo, s9
.LBB2_119:
	s_wait_alu 0xfffe
	s_or_b32 exec_lo, exec_lo, s8
	v_readfirstlane_b32 s9, v9
	s_wait_loadcnt 0x0
	v_mov_b32_e32 v2, 0
	v_readfirstlane_b32 s8, v8
	s_mov_b32 s10, exec_lo
	s_clause 0x1
	global_load_b64 v[10:11], v2, s[6:7] offset:40
	global_load_b128 v[4:7], v2, s[6:7]
	s_wait_loadcnt 0x1
	s_wait_alu 0xf1ff
	v_and_b32_e32 v11, s9, v11
	v_and_b32_e32 v10, s8, v10
	s_delay_alu instid0(VALU_DEP_2) | instskip(NEXT) | instid1(VALU_DEP_2)
	v_mul_lo_u32 v3, 24, v11
	v_mul_lo_u32 v8, 0, v10
	v_mul_hi_u32 v9, 24, v10
	v_mul_lo_u32 v12, 24, v10
	s_delay_alu instid0(VALU_DEP_3) | instskip(SKIP_1) | instid1(VALU_DEP_2)
	v_add_nc_u32_e32 v3, v3, v8
	s_wait_loadcnt 0x0
	v_add_co_u32 v8, vcc_lo, v4, v12
	s_delay_alu instid0(VALU_DEP_2) | instskip(SKIP_1) | instid1(VALU_DEP_1)
	v_add_nc_u32_e32 v3, v3, v9
	s_wait_alu 0xfffd
	v_add_co_ci_u32_e64 v9, null, v5, v3, vcc_lo
	s_and_saveexec_b32 s11, s3
	s_cbranch_execz .LBB2_121
; %bb.120:
	s_wait_alu 0xfffe
	v_dual_mov_b32 v12, s10 :: v_dual_mov_b32 v13, v2
	v_dual_mov_b32 v14, 2 :: v_dual_mov_b32 v15, 1
	global_store_b128 v[8:9], v[12:15], off offset:8
.LBB2_121:
	s_wait_alu 0xfffe
	s_or_b32 exec_lo, exec_lo, s11
	v_lshlrev_b64_e32 v[10:11], 12, v[10:11]
	s_mov_b32 s12, 0
	v_and_or_b32 v0, 0xffffff1f, v0, 32
	s_wait_alu 0xfffe
	s_mov_b32 s13, s12
	s_mov_b32 s14, s12
	;; [unrolled: 1-line block ×3, first 2 shown]
	v_add_co_u32 v6, vcc_lo, v6, v10
	s_wait_alu 0xfffd
	v_add_co_ci_u32_e64 v7, null, v7, v11, vcc_lo
	v_dual_mov_b32 v3, v2 :: v_dual_mov_b32 v10, s12
	s_delay_alu instid0(VALU_DEP_3) | instskip(SKIP_1) | instid1(VALU_DEP_4)
	v_readfirstlane_b32 s10, v6
	v_add_co_u32 v6, vcc_lo, v6, v28
	v_readfirstlane_b32 s11, v7
	s_wait_alu 0xfffd
	v_add_co_ci_u32_e64 v7, null, 0, v7, vcc_lo
	s_wait_alu 0xfffe
	v_dual_mov_b32 v11, s13 :: v_dual_mov_b32 v12, s14
	v_mov_b32_e32 v13, s15
	s_clause 0x3
	global_store_b128 v28, v[0:3], s[10:11]
	global_store_b128 v28, v[10:13], s[10:11] offset:16
	global_store_b128 v28, v[10:13], s[10:11] offset:32
	;; [unrolled: 1-line block ×3, first 2 shown]
	s_and_saveexec_b32 s10, s3
	s_cbranch_execz .LBB2_128
; %bb.122:
	v_mov_b32_e32 v10, 0
	s_mov_b32 s11, exec_lo
	s_clause 0x1
	global_load_b64 v[13:14], v10, s[6:7] offset:32 scope:SCOPE_SYS
	global_load_b64 v[0:1], v10, s[6:7] offset:40
	v_dual_mov_b32 v11, s8 :: v_dual_mov_b32 v12, s9
	s_wait_loadcnt 0x0
	v_and_b32_e32 v1, s9, v1
	v_and_b32_e32 v0, s8, v0
	s_delay_alu instid0(VALU_DEP_2) | instskip(NEXT) | instid1(VALU_DEP_2)
	v_mul_lo_u32 v1, 24, v1
	v_mul_lo_u32 v2, 0, v0
	v_mul_hi_u32 v3, 24, v0
	v_mul_lo_u32 v0, 24, v0
	s_delay_alu instid0(VALU_DEP_3) | instskip(NEXT) | instid1(VALU_DEP_2)
	v_add_nc_u32_e32 v1, v1, v2
	v_add_co_u32 v4, vcc_lo, v4, v0
	s_delay_alu instid0(VALU_DEP_2) | instskip(SKIP_1) | instid1(VALU_DEP_1)
	v_add_nc_u32_e32 v1, v1, v3
	s_wait_alu 0xfffd
	v_add_co_ci_u32_e64 v5, null, v5, v1, vcc_lo
	global_store_b64 v[4:5], v[13:14], off
	global_wb scope:SCOPE_SYS
	s_wait_storecnt 0x0
	global_atomic_cmpswap_b64 v[2:3], v10, v[11:14], s[6:7] offset:32 th:TH_ATOMIC_RETURN scope:SCOPE_SYS
	s_wait_loadcnt 0x0
	v_cmpx_ne_u64_e64 v[2:3], v[13:14]
	s_cbranch_execz .LBB2_124
.LBB2_123:                              ; =>This Inner Loop Header: Depth=1
	v_dual_mov_b32 v0, s8 :: v_dual_mov_b32 v1, s9
	s_sleep 1
	global_store_b64 v[4:5], v[2:3], off
	global_wb scope:SCOPE_SYS
	s_wait_storecnt 0x0
	global_atomic_cmpswap_b64 v[0:1], v10, v[0:3], s[6:7] offset:32 th:TH_ATOMIC_RETURN scope:SCOPE_SYS
	s_wait_loadcnt 0x0
	v_cmp_eq_u64_e32 vcc_lo, v[0:1], v[2:3]
	v_dual_mov_b32 v3, v1 :: v_dual_mov_b32 v2, v0
	s_or_b32 s12, vcc_lo, s12
	s_wait_alu 0xfffe
	s_and_not1_b32 exec_lo, exec_lo, s12
	s_cbranch_execnz .LBB2_123
.LBB2_124:
	s_wait_alu 0xfffe
	s_or_b32 exec_lo, exec_lo, s11
	v_mov_b32_e32 v3, 0
	s_mov_b32 s12, exec_lo
	s_mov_b32 s11, exec_lo
	s_wait_alu 0xfffe
	v_mbcnt_lo_u32_b32 v2, s12, 0
	global_load_b64 v[0:1], v3, s[6:7] offset:16
	v_cmpx_eq_u32_e32 0, v2
	s_cbranch_execz .LBB2_126
; %bb.125:
	s_bcnt1_i32_b32 s12, s12
	s_wait_alu 0xfffe
	v_mov_b32_e32 v2, s12
	global_wb scope:SCOPE_SYS
	s_wait_loadcnt 0x0
	s_wait_storecnt 0x0
	global_atomic_add_u64 v[0:1], v[2:3], off offset:8 scope:SCOPE_SYS
.LBB2_126:
	s_or_b32 exec_lo, exec_lo, s11
	s_wait_loadcnt 0x0
	global_load_b64 v[2:3], v[0:1], off offset:16
	s_wait_loadcnt 0x0
	v_cmp_eq_u64_e32 vcc_lo, 0, v[2:3]
	s_cbranch_vccnz .LBB2_128
; %bb.127:
	global_load_b32 v0, v[0:1], off offset:24
	v_mov_b32_e32 v1, 0
	s_wait_loadcnt 0x0
	v_readfirstlane_b32 s11, v0
	global_wb scope:SCOPE_SYS
	s_wait_storecnt 0x0
	global_store_b64 v[2:3], v[0:1], off scope:SCOPE_SYS
	s_and_b32 m0, s11, 0xffffff
	s_sendmsg sendmsg(MSG_INTERRUPT)
.LBB2_128:
	s_wait_alu 0xfffe
	s_or_b32 exec_lo, exec_lo, s10
	s_branch .LBB2_132
.LBB2_129:                              ;   in Loop: Header=BB2_132 Depth=1
	s_wait_alu 0xfffe
	s_or_b32 exec_lo, exec_lo, s10
	s_delay_alu instid0(VALU_DEP_1)
	v_readfirstlane_b32 s10, v0
	s_cmp_eq_u32 s10, 0
	s_cbranch_scc1 .LBB2_131
; %bb.130:                              ;   in Loop: Header=BB2_132 Depth=1
	s_sleep 1
	s_cbranch_execnz .LBB2_132
	s_branch .LBB2_134
.LBB2_131:
	s_branch .LBB2_134
.LBB2_132:                              ; =>This Inner Loop Header: Depth=1
	v_mov_b32_e32 v0, 1
	s_and_saveexec_b32 s10, s3
	s_cbranch_execz .LBB2_129
; %bb.133:                              ;   in Loop: Header=BB2_132 Depth=1
	global_load_b32 v0, v[8:9], off offset:20 scope:SCOPE_SYS
	s_wait_loadcnt 0x0
	global_inv scope:SCOPE_SYS
	v_and_b32_e32 v0, 1, v0
	s_branch .LBB2_129
.LBB2_134:
	global_load_b64 v[2:3], v[6:7], off
	s_and_saveexec_b32 s10, s3
	s_cbranch_execz .LBB2_138
; %bb.135:
	v_mov_b32_e32 v8, 0
	s_clause 0x2
	global_load_b64 v[0:1], v8, s[6:7] offset:40
	global_load_b64 v[11:12], v8, s[6:7] offset:24 scope:SCOPE_SYS
	global_load_b64 v[4:5], v8, s[6:7]
	s_wait_loadcnt 0x2
	v_readfirstlane_b32 s12, v0
	v_readfirstlane_b32 s13, v1
	s_add_nc_u64 s[14:15], s[12:13], 1
	s_wait_alu 0xfffe
	s_add_nc_u64 s[8:9], s[14:15], s[8:9]
	s_wait_alu 0xfffe
	s_cmp_eq_u64 s[8:9], 0
	s_cselect_b32 s9, s15, s9
	s_cselect_b32 s8, s14, s8
	s_wait_alu 0xfffe
	v_mov_b32_e32 v10, s9
	s_and_b64 s[12:13], s[8:9], s[12:13]
	v_mov_b32_e32 v9, s8
	s_wait_alu 0xfffe
	s_mul_u64 s[12:13], s[12:13], 24
	s_wait_loadcnt 0x0
	s_wait_alu 0xfffe
	v_add_co_u32 v0, vcc_lo, v4, s12
	s_wait_alu 0xfffd
	v_add_co_ci_u32_e64 v1, null, s13, v5, vcc_lo
	global_store_b64 v[0:1], v[11:12], off
	global_wb scope:SCOPE_SYS
	s_wait_storecnt 0x0
	global_atomic_cmpswap_b64 v[6:7], v8, v[9:12], s[6:7] offset:24 th:TH_ATOMIC_RETURN scope:SCOPE_SYS
	s_wait_loadcnt 0x0
	v_cmp_ne_u64_e32 vcc_lo, v[6:7], v[11:12]
	s_and_b32 exec_lo, exec_lo, vcc_lo
	s_cbranch_execz .LBB2_138
; %bb.136:
	s_mov_b32 s3, 0
.LBB2_137:                              ; =>This Inner Loop Header: Depth=1
	v_dual_mov_b32 v4, s8 :: v_dual_mov_b32 v5, s9
	s_sleep 1
	global_store_b64 v[0:1], v[6:7], off
	global_wb scope:SCOPE_SYS
	s_wait_storecnt 0x0
	global_atomic_cmpswap_b64 v[4:5], v8, v[4:7], s[6:7] offset:24 th:TH_ATOMIC_RETURN scope:SCOPE_SYS
	s_wait_loadcnt 0x0
	v_cmp_eq_u64_e32 vcc_lo, v[4:5], v[6:7]
	v_dual_mov_b32 v7, v5 :: v_dual_mov_b32 v6, v4
	s_wait_alu 0xfffe
	s_or_b32 s3, vcc_lo, s3
	s_wait_alu 0xfffe
	s_and_not1_b32 exec_lo, exec_lo, s3
	s_cbranch_execnz .LBB2_137
.LBB2_138:
	s_wait_alu 0xfffe
	s_or_b32 exec_lo, exec_lo, s10
.LBB2_139:
	v_readfirstlane_b32 s3, v32
	s_wait_loadcnt 0x0
	v_mov_b32_e32 v0, 0
	v_mov_b32_e32 v1, 0
	s_wait_alu 0xf1ff
	v_cmp_eq_u32_e64 s3, s3, v32
	s_and_saveexec_b32 s8, s3
	s_cbranch_execz .LBB2_145
; %bb.140:
	v_mov_b32_e32 v4, 0
	s_mov_b32 s9, exec_lo
	global_load_b64 v[7:8], v4, s[6:7] offset:24 scope:SCOPE_SYS
	s_wait_loadcnt 0x0
	global_inv scope:SCOPE_SYS
	s_clause 0x1
	global_load_b64 v[0:1], v4, s[6:7] offset:40
	global_load_b64 v[5:6], v4, s[6:7]
	s_wait_loadcnt 0x1
	v_and_b32_e32 v1, v1, v8
	v_and_b32_e32 v0, v0, v7
	s_delay_alu instid0(VALU_DEP_2) | instskip(NEXT) | instid1(VALU_DEP_2)
	v_mul_lo_u32 v1, 24, v1
	v_mul_lo_u32 v9, 0, v0
	v_mul_hi_u32 v10, 24, v0
	v_mul_lo_u32 v0, 24, v0
	s_delay_alu instid0(VALU_DEP_3) | instskip(SKIP_1) | instid1(VALU_DEP_2)
	v_add_nc_u32_e32 v1, v1, v9
	s_wait_loadcnt 0x0
	v_add_co_u32 v0, vcc_lo, v5, v0
	s_delay_alu instid0(VALU_DEP_2) | instskip(SKIP_1) | instid1(VALU_DEP_1)
	v_add_nc_u32_e32 v1, v1, v10
	s_wait_alu 0xfffd
	v_add_co_ci_u32_e64 v1, null, v6, v1, vcc_lo
	global_load_b64 v[5:6], v[0:1], off scope:SCOPE_SYS
	s_wait_loadcnt 0x0
	global_atomic_cmpswap_b64 v[0:1], v4, v[5:8], s[6:7] offset:24 th:TH_ATOMIC_RETURN scope:SCOPE_SYS
	s_wait_loadcnt 0x0
	global_inv scope:SCOPE_SYS
	v_cmpx_ne_u64_e64 v[0:1], v[7:8]
	s_cbranch_execz .LBB2_144
; %bb.141:
	s_mov_b32 s10, 0
.LBB2_142:                              ; =>This Inner Loop Header: Depth=1
	s_sleep 1
	s_clause 0x1
	global_load_b64 v[5:6], v4, s[6:7] offset:40
	global_load_b64 v[9:10], v4, s[6:7]
	v_dual_mov_b32 v8, v1 :: v_dual_mov_b32 v7, v0
	s_wait_loadcnt 0x1
	s_delay_alu instid0(VALU_DEP_1) | instskip(NEXT) | instid1(VALU_DEP_2)
	v_and_b32_e32 v0, v5, v7
	v_and_b32_e32 v5, v6, v8
	s_wait_loadcnt 0x0
	s_delay_alu instid0(VALU_DEP_2) | instskip(NEXT) | instid1(VALU_DEP_1)
	v_mad_co_u64_u32 v[0:1], null, v0, 24, v[9:10]
	v_mad_co_u64_u32 v[5:6], null, v5, 24, v[1:2]
	s_delay_alu instid0(VALU_DEP_1)
	v_mov_b32_e32 v1, v5
	global_load_b64 v[5:6], v[0:1], off scope:SCOPE_SYS
	s_wait_loadcnt 0x0
	global_atomic_cmpswap_b64 v[0:1], v4, v[5:8], s[6:7] offset:24 th:TH_ATOMIC_RETURN scope:SCOPE_SYS
	s_wait_loadcnt 0x0
	global_inv scope:SCOPE_SYS
	v_cmp_eq_u64_e32 vcc_lo, v[0:1], v[7:8]
	s_wait_alu 0xfffe
	s_or_b32 s10, vcc_lo, s10
	s_wait_alu 0xfffe
	s_and_not1_b32 exec_lo, exec_lo, s10
	s_cbranch_execnz .LBB2_142
; %bb.143:
	s_or_b32 exec_lo, exec_lo, s10
.LBB2_144:
	s_wait_alu 0xfffe
	s_or_b32 exec_lo, exec_lo, s9
.LBB2_145:
	s_wait_alu 0xfffe
	s_or_b32 exec_lo, exec_lo, s8
	v_readfirstlane_b32 s8, v0
	v_mov_b32_e32 v5, 0
	v_readfirstlane_b32 s9, v1
	s_mov_b32 s10, exec_lo
	s_clause 0x1
	global_load_b64 v[10:11], v5, s[6:7] offset:40
	global_load_b128 v[6:9], v5, s[6:7]
	s_wait_loadcnt 0x1
	s_wait_alu 0xf1ff
	v_and_b32_e32 v1, s9, v11
	v_and_b32_e32 v0, s8, v10
	s_delay_alu instid0(VALU_DEP_2) | instskip(NEXT) | instid1(VALU_DEP_2)
	v_mul_lo_u32 v4, 24, v1
	v_mul_lo_u32 v10, 0, v0
	v_mul_hi_u32 v11, 24, v0
	v_mul_lo_u32 v12, 24, v0
	s_delay_alu instid0(VALU_DEP_3) | instskip(SKIP_1) | instid1(VALU_DEP_2)
	v_add_nc_u32_e32 v4, v4, v10
	s_wait_loadcnt 0x0
	v_add_co_u32 v10, vcc_lo, v6, v12
	s_delay_alu instid0(VALU_DEP_2) | instskip(SKIP_1) | instid1(VALU_DEP_1)
	v_add_nc_u32_e32 v4, v4, v11
	s_wait_alu 0xfffd
	v_add_co_ci_u32_e64 v11, null, v7, v4, vcc_lo
	s_and_saveexec_b32 s11, s3
	s_cbranch_execz .LBB2_147
; %bb.146:
	s_wait_alu 0xfffe
	v_dual_mov_b32 v4, s10 :: v_dual_mov_b32 v15, 1
	v_dual_mov_b32 v14, 2 :: v_dual_mov_b32 v13, v5
	s_delay_alu instid0(VALU_DEP_2)
	v_mov_b32_e32 v12, v4
	global_store_b128 v[10:11], v[12:15], off offset:8
.LBB2_147:
	s_wait_alu 0xfffe
	s_or_b32 exec_lo, exec_lo, s11
	v_lshlrev_b64_e32 v[0:1], 12, v[0:1]
	s_mov_b32 s12, 0
	s_add_co_i32 s10, s20, -1
	s_wait_alu 0xfffe
	s_mov_b32 s13, s12
	s_mov_b32 s14, s12
	;; [unrolled: 1-line block ×3, first 2 shown]
	v_add_co_u32 v0, vcc_lo, v8, v0
	s_wait_alu 0xfffd
	v_add_co_ci_u32_e64 v1, null, v9, v1, vcc_lo
	v_and_or_b32 v2, 0xffffff1f, v2, 32
	s_delay_alu instid0(VALU_DEP_3)
	v_add_co_u32 v8, vcc_lo, v0, v28
	v_mov_b32_e32 v4, s10
	v_readfirstlane_b32 s16, v0
	v_readfirstlane_b32 s17, v1
	s_wait_alu 0xfffe
	v_dual_mov_b32 v12, s12 :: v_dual_mov_b32 v15, s15
	s_wait_alu 0xfffd
	v_add_co_ci_u32_e64 v9, null, 0, v1, vcc_lo
	v_dual_mov_b32 v13, s13 :: v_dual_mov_b32 v14, s14
	s_clause 0x3
	global_store_b128 v28, v[2:5], s[16:17]
	global_store_b128 v28, v[12:15], s[16:17] offset:16
	global_store_b128 v28, v[12:15], s[16:17] offset:32
	global_store_b128 v28, v[12:15], s[16:17] offset:48
	s_and_saveexec_b32 s11, s3
	s_cbranch_execz .LBB2_155
; %bb.148:
	v_mov_b32_e32 v12, 0
	s_mov_b32 s12, exec_lo
	s_clause 0x1
	global_load_b64 v[15:16], v12, s[6:7] offset:32 scope:SCOPE_SYS
	global_load_b64 v[0:1], v12, s[6:7] offset:40
	v_dual_mov_b32 v13, s8 :: v_dual_mov_b32 v14, s9
	s_wait_loadcnt 0x0
	v_and_b32_e32 v1, s9, v1
	v_and_b32_e32 v0, s8, v0
	s_delay_alu instid0(VALU_DEP_2) | instskip(NEXT) | instid1(VALU_DEP_2)
	v_mul_lo_u32 v1, 24, v1
	v_mul_lo_u32 v2, 0, v0
	v_mul_hi_u32 v3, 24, v0
	v_mul_lo_u32 v0, 24, v0
	s_delay_alu instid0(VALU_DEP_3) | instskip(NEXT) | instid1(VALU_DEP_2)
	v_add_nc_u32_e32 v1, v1, v2
	v_add_co_u32 v4, vcc_lo, v6, v0
	s_delay_alu instid0(VALU_DEP_2) | instskip(SKIP_1) | instid1(VALU_DEP_1)
	v_add_nc_u32_e32 v1, v1, v3
	s_wait_alu 0xfffd
	v_add_co_ci_u32_e64 v5, null, v7, v1, vcc_lo
	global_store_b64 v[4:5], v[15:16], off
	global_wb scope:SCOPE_SYS
	s_wait_storecnt 0x0
	global_atomic_cmpswap_b64 v[2:3], v12, v[13:16], s[6:7] offset:32 th:TH_ATOMIC_RETURN scope:SCOPE_SYS
	s_wait_loadcnt 0x0
	v_cmpx_ne_u64_e64 v[2:3], v[15:16]
	s_cbranch_execz .LBB2_151
; %bb.149:
	s_mov_b32 s13, 0
.LBB2_150:                              ; =>This Inner Loop Header: Depth=1
	v_dual_mov_b32 v0, s8 :: v_dual_mov_b32 v1, s9
	s_sleep 1
	global_store_b64 v[4:5], v[2:3], off
	global_wb scope:SCOPE_SYS
	s_wait_storecnt 0x0
	global_atomic_cmpswap_b64 v[0:1], v12, v[0:3], s[6:7] offset:32 th:TH_ATOMIC_RETURN scope:SCOPE_SYS
	s_wait_loadcnt 0x0
	v_cmp_eq_u64_e32 vcc_lo, v[0:1], v[2:3]
	v_dual_mov_b32 v3, v1 :: v_dual_mov_b32 v2, v0
	s_wait_alu 0xfffe
	s_or_b32 s13, vcc_lo, s13
	s_wait_alu 0xfffe
	s_and_not1_b32 exec_lo, exec_lo, s13
	s_cbranch_execnz .LBB2_150
.LBB2_151:
	s_wait_alu 0xfffe
	s_or_b32 exec_lo, exec_lo, s12
	v_mov_b32_e32 v3, 0
	s_mov_b32 s13, exec_lo
	s_mov_b32 s12, exec_lo
	s_wait_alu 0xfffe
	v_mbcnt_lo_u32_b32 v2, s13, 0
	global_load_b64 v[0:1], v3, s[6:7] offset:16
	v_cmpx_eq_u32_e32 0, v2
	s_cbranch_execz .LBB2_153
; %bb.152:
	s_bcnt1_i32_b32 s13, s13
	s_wait_alu 0xfffe
	v_mov_b32_e32 v2, s13
	global_wb scope:SCOPE_SYS
	s_wait_loadcnt 0x0
	s_wait_storecnt 0x0
	global_atomic_add_u64 v[0:1], v[2:3], off offset:8 scope:SCOPE_SYS
.LBB2_153:
	s_or_b32 exec_lo, exec_lo, s12
	s_wait_loadcnt 0x0
	global_load_b64 v[2:3], v[0:1], off offset:16
	s_wait_loadcnt 0x0
	v_cmp_eq_u64_e32 vcc_lo, 0, v[2:3]
	s_cbranch_vccnz .LBB2_155
; %bb.154:
	global_load_b32 v0, v[0:1], off offset:24
	v_mov_b32_e32 v1, 0
	s_wait_loadcnt 0x0
	v_readfirstlane_b32 s12, v0
	global_wb scope:SCOPE_SYS
	s_wait_storecnt 0x0
	global_store_b64 v[2:3], v[0:1], off scope:SCOPE_SYS
	s_and_b32 m0, s12, 0xffffff
	s_sendmsg sendmsg(MSG_INTERRUPT)
.LBB2_155:
	s_wait_alu 0xfffe
	s_or_b32 exec_lo, exec_lo, s11
	s_branch .LBB2_159
.LBB2_156:                              ;   in Loop: Header=BB2_159 Depth=1
	s_wait_alu 0xfffe
	s_or_b32 exec_lo, exec_lo, s11
	s_delay_alu instid0(VALU_DEP_1)
	v_readfirstlane_b32 s11, v0
	s_cmp_eq_u32 s11, 0
	s_cbranch_scc1 .LBB2_158
; %bb.157:                              ;   in Loop: Header=BB2_159 Depth=1
	s_sleep 1
	s_cbranch_execnz .LBB2_159
	s_branch .LBB2_161
.LBB2_158:
	s_branch .LBB2_161
.LBB2_159:                              ; =>This Inner Loop Header: Depth=1
	v_mov_b32_e32 v0, 1
	s_and_saveexec_b32 s11, s3
	s_cbranch_execz .LBB2_156
; %bb.160:                              ;   in Loop: Header=BB2_159 Depth=1
	global_load_b32 v0, v[10:11], off offset:20 scope:SCOPE_SYS
	s_wait_loadcnt 0x0
	global_inv scope:SCOPE_SYS
	v_and_b32_e32 v0, 1, v0
	s_branch .LBB2_156
.LBB2_161:
	global_load_b64 v[0:1], v[8:9], off
	s_and_saveexec_b32 s11, s3
	s_cbranch_execz .LBB2_165
; %bb.162:
	v_mov_b32_e32 v8, 0
	s_clause 0x2
	global_load_b64 v[2:3], v8, s[6:7] offset:40
	global_load_b64 v[11:12], v8, s[6:7] offset:24 scope:SCOPE_SYS
	global_load_b64 v[4:5], v8, s[6:7]
	s_wait_loadcnt 0x2
	v_readfirstlane_b32 s12, v2
	v_readfirstlane_b32 s13, v3
	s_add_nc_u64 s[14:15], s[12:13], 1
	s_wait_alu 0xfffe
	s_add_nc_u64 s[8:9], s[14:15], s[8:9]
	s_wait_alu 0xfffe
	s_cmp_eq_u64 s[8:9], 0
	s_cselect_b32 s9, s15, s9
	s_cselect_b32 s8, s14, s8
	s_wait_alu 0xfffe
	v_mov_b32_e32 v10, s9
	s_and_b64 s[12:13], s[8:9], s[12:13]
	v_mov_b32_e32 v9, s8
	s_wait_alu 0xfffe
	s_mul_u64 s[12:13], s[12:13], 24
	s_wait_loadcnt 0x0
	s_wait_alu 0xfffe
	v_add_co_u32 v6, vcc_lo, v4, s12
	s_wait_alu 0xfffd
	v_add_co_ci_u32_e64 v7, null, s13, v5, vcc_lo
	global_store_b64 v[6:7], v[11:12], off
	global_wb scope:SCOPE_SYS
	s_wait_storecnt 0x0
	global_atomic_cmpswap_b64 v[4:5], v8, v[9:12], s[6:7] offset:24 th:TH_ATOMIC_RETURN scope:SCOPE_SYS
	s_wait_loadcnt 0x0
	v_cmp_ne_u64_e32 vcc_lo, v[4:5], v[11:12]
	s_and_b32 exec_lo, exec_lo, vcc_lo
	s_cbranch_execz .LBB2_165
; %bb.163:
	s_mov_b32 s3, 0
.LBB2_164:                              ; =>This Inner Loop Header: Depth=1
	v_dual_mov_b32 v2, s8 :: v_dual_mov_b32 v3, s9
	s_sleep 1
	global_store_b64 v[6:7], v[4:5], off
	global_wb scope:SCOPE_SYS
	s_wait_storecnt 0x0
	global_atomic_cmpswap_b64 v[2:3], v8, v[2:5], s[6:7] offset:24 th:TH_ATOMIC_RETURN scope:SCOPE_SYS
	s_wait_loadcnt 0x0
	v_cmp_eq_u64_e32 vcc_lo, v[2:3], v[4:5]
	v_dual_mov_b32 v5, v3 :: v_dual_mov_b32 v4, v2
	s_wait_alu 0xfffe
	s_or_b32 s3, vcc_lo, s3
	s_wait_alu 0xfffe
	s_and_not1_b32 exec_lo, exec_lo, s3
	s_cbranch_execnz .LBB2_164
.LBB2_165:
	s_wait_alu 0xfffe
	s_or_b32 exec_lo, exec_lo, s11
	v_readfirstlane_b32 s3, v32
	v_mov_b32_e32 v8, 0
	v_mov_b32_e32 v9, 0
	s_wait_alu 0xf1ff
	s_delay_alu instid0(VALU_DEP_3)
	v_cmp_eq_u32_e64 s3, s3, v32
	s_and_saveexec_b32 s8, s3
	s_cbranch_execz .LBB2_171
; %bb.166:
	v_mov_b32_e32 v2, 0
	s_mov_b32 s9, exec_lo
	global_load_b64 v[5:6], v2, s[6:7] offset:24 scope:SCOPE_SYS
	s_wait_loadcnt 0x0
	global_inv scope:SCOPE_SYS
	s_clause 0x1
	global_load_b64 v[3:4], v2, s[6:7] offset:40
	global_load_b64 v[7:8], v2, s[6:7]
	s_wait_loadcnt 0x1
	v_and_b32_e32 v4, v4, v6
	v_and_b32_e32 v3, v3, v5
	s_delay_alu instid0(VALU_DEP_2) | instskip(NEXT) | instid1(VALU_DEP_2)
	v_mul_lo_u32 v4, 24, v4
	v_mul_lo_u32 v9, 0, v3
	v_mul_hi_u32 v10, 24, v3
	v_mul_lo_u32 v3, 24, v3
	s_delay_alu instid0(VALU_DEP_3) | instskip(SKIP_1) | instid1(VALU_DEP_2)
	v_add_nc_u32_e32 v4, v4, v9
	s_wait_loadcnt 0x0
	v_add_co_u32 v3, vcc_lo, v7, v3
	s_delay_alu instid0(VALU_DEP_2) | instskip(SKIP_1) | instid1(VALU_DEP_1)
	v_add_nc_u32_e32 v4, v4, v10
	s_wait_alu 0xfffd
	v_add_co_ci_u32_e64 v4, null, v8, v4, vcc_lo
	global_load_b64 v[3:4], v[3:4], off scope:SCOPE_SYS
	s_wait_loadcnt 0x0
	global_atomic_cmpswap_b64 v[8:9], v2, v[3:6], s[6:7] offset:24 th:TH_ATOMIC_RETURN scope:SCOPE_SYS
	s_wait_loadcnt 0x0
	global_inv scope:SCOPE_SYS
	v_cmpx_ne_u64_e64 v[8:9], v[5:6]
	s_cbranch_execz .LBB2_170
; %bb.167:
	s_mov_b32 s11, 0
.LBB2_168:                              ; =>This Inner Loop Header: Depth=1
	s_sleep 1
	s_clause 0x1
	global_load_b64 v[3:4], v2, s[6:7] offset:40
	global_load_b64 v[10:11], v2, s[6:7]
	v_dual_mov_b32 v5, v8 :: v_dual_mov_b32 v6, v9
	s_wait_loadcnt 0x1
	s_delay_alu instid0(VALU_DEP_1) | instskip(NEXT) | instid1(VALU_DEP_2)
	v_and_b32_e32 v3, v3, v5
	v_and_b32_e32 v4, v4, v6
	s_wait_loadcnt 0x0
	s_delay_alu instid0(VALU_DEP_2) | instskip(NEXT) | instid1(VALU_DEP_1)
	v_mad_co_u64_u32 v[7:8], null, v3, 24, v[10:11]
	v_mov_b32_e32 v3, v8
	s_delay_alu instid0(VALU_DEP_1) | instskip(NEXT) | instid1(VALU_DEP_1)
	v_mad_co_u64_u32 v[3:4], null, v4, 24, v[3:4]
	v_mov_b32_e32 v8, v3
	global_load_b64 v[3:4], v[7:8], off scope:SCOPE_SYS
	s_wait_loadcnt 0x0
	global_atomic_cmpswap_b64 v[8:9], v2, v[3:6], s[6:7] offset:24 th:TH_ATOMIC_RETURN scope:SCOPE_SYS
	s_wait_loadcnt 0x0
	global_inv scope:SCOPE_SYS
	v_cmp_eq_u64_e32 vcc_lo, v[8:9], v[5:6]
	s_wait_alu 0xfffe
	s_or_b32 s11, vcc_lo, s11
	s_wait_alu 0xfffe
	s_and_not1_b32 exec_lo, exec_lo, s11
	s_cbranch_execnz .LBB2_168
; %bb.169:
	s_or_b32 exec_lo, exec_lo, s11
.LBB2_170:
	s_wait_alu 0xfffe
	s_or_b32 exec_lo, exec_lo, s9
.LBB2_171:
	s_wait_alu 0xfffe
	s_or_b32 exec_lo, exec_lo, s8
	v_readfirstlane_b32 s8, v8
	v_mov_b32_e32 v3, 0
	v_readfirstlane_b32 s9, v9
	s_mov_b32 s11, exec_lo
	s_clause 0x1
	global_load_b64 v[10:11], v3, s[6:7] offset:40
	global_load_b128 v[4:7], v3, s[6:7]
	s_wait_loadcnt 0x1
	s_wait_alu 0xf1ff
	v_and_b32_e32 v11, s9, v11
	v_and_b32_e32 v10, s8, v10
	s_delay_alu instid0(VALU_DEP_2) | instskip(NEXT) | instid1(VALU_DEP_2)
	v_mul_lo_u32 v2, 24, v11
	v_mul_lo_u32 v8, 0, v10
	v_mul_hi_u32 v9, 24, v10
	v_mul_lo_u32 v12, 24, v10
	s_delay_alu instid0(VALU_DEP_3) | instskip(SKIP_1) | instid1(VALU_DEP_2)
	v_add_nc_u32_e32 v2, v2, v8
	s_wait_loadcnt 0x0
	v_add_co_u32 v8, vcc_lo, v4, v12
	s_delay_alu instid0(VALU_DEP_2) | instskip(SKIP_1) | instid1(VALU_DEP_1)
	v_add_nc_u32_e32 v2, v2, v9
	s_wait_alu 0xfffd
	v_add_co_ci_u32_e64 v9, null, v5, v2, vcc_lo
	s_and_saveexec_b32 s12, s3
	s_cbranch_execz .LBB2_173
; %bb.172:
	s_wait_alu 0xfffe
	v_dual_mov_b32 v2, s11 :: v_dual_mov_b32 v15, 1
	v_dual_mov_b32 v14, 2 :: v_dual_mov_b32 v13, v3
	s_delay_alu instid0(VALU_DEP_2)
	v_mov_b32_e32 v12, v2
	global_store_b128 v[8:9], v[12:15], off offset:8
.LBB2_173:
	s_wait_alu 0xfffe
	s_or_b32 exec_lo, exec_lo, s12
	v_lshlrev_b64_e32 v[10:11], 12, v[10:11]
	s_mov_b32 s12, 0
	v_cndmask_b32_e64 v2, -1, v33, s2
	s_wait_alu 0xfffe
	s_mov_b32 s13, s12
	s_mov_b32 s14, s12
	;; [unrolled: 1-line block ×3, first 2 shown]
	v_add_co_u32 v6, vcc_lo, v6, v10
	s_wait_alu 0xfffd
	v_add_co_ci_u32_e64 v7, null, v7, v11, vcc_lo
	v_and_or_b32 v0, 0xffffff1f, v0, 32
	s_delay_alu instid0(VALU_DEP_3) | instskip(SKIP_1) | instid1(VALU_DEP_4)
	v_readfirstlane_b32 s16, v6
	v_add_co_u32 v6, vcc_lo, v6, v28
	v_readfirstlane_b32 s17, v7
	s_wait_alu 0xfffe
	v_dual_mov_b32 v10, s12 :: v_dual_mov_b32 v11, s13
	s_wait_alu 0xfffd
	v_add_co_ci_u32_e64 v7, null, 0, v7, vcc_lo
	v_dual_mov_b32 v12, s14 :: v_dual_mov_b32 v13, s15
	s_clause 0x3
	global_store_b128 v28, v[0:3], s[16:17]
	global_store_b128 v28, v[10:13], s[16:17] offset:16
	global_store_b128 v28, v[10:13], s[16:17] offset:32
	;; [unrolled: 1-line block ×3, first 2 shown]
	s_and_saveexec_b32 s2, s3
	s_cbranch_execz .LBB2_180
; %bb.174:
	v_mov_b32_e32 v10, 0
	s_mov_b32 s11, exec_lo
	s_clause 0x1
	global_load_b64 v[13:14], v10, s[6:7] offset:32 scope:SCOPE_SYS
	global_load_b64 v[0:1], v10, s[6:7] offset:40
	v_dual_mov_b32 v11, s8 :: v_dual_mov_b32 v12, s9
	s_wait_loadcnt 0x0
	v_and_b32_e32 v1, s9, v1
	v_and_b32_e32 v0, s8, v0
	s_delay_alu instid0(VALU_DEP_2) | instskip(NEXT) | instid1(VALU_DEP_2)
	v_mul_lo_u32 v1, 24, v1
	v_mul_lo_u32 v2, 0, v0
	v_mul_hi_u32 v3, 24, v0
	v_mul_lo_u32 v0, 24, v0
	s_delay_alu instid0(VALU_DEP_3) | instskip(NEXT) | instid1(VALU_DEP_2)
	v_add_nc_u32_e32 v1, v1, v2
	v_add_co_u32 v4, vcc_lo, v4, v0
	s_delay_alu instid0(VALU_DEP_2) | instskip(SKIP_1) | instid1(VALU_DEP_1)
	v_add_nc_u32_e32 v1, v1, v3
	s_wait_alu 0xfffd
	v_add_co_ci_u32_e64 v5, null, v5, v1, vcc_lo
	global_store_b64 v[4:5], v[13:14], off
	global_wb scope:SCOPE_SYS
	s_wait_storecnt 0x0
	global_atomic_cmpswap_b64 v[2:3], v10, v[11:14], s[6:7] offset:32 th:TH_ATOMIC_RETURN scope:SCOPE_SYS
	s_wait_loadcnt 0x0
	v_cmpx_ne_u64_e64 v[2:3], v[13:14]
	s_cbranch_execz .LBB2_176
.LBB2_175:                              ; =>This Inner Loop Header: Depth=1
	v_dual_mov_b32 v0, s8 :: v_dual_mov_b32 v1, s9
	s_sleep 1
	global_store_b64 v[4:5], v[2:3], off
	global_wb scope:SCOPE_SYS
	s_wait_storecnt 0x0
	global_atomic_cmpswap_b64 v[0:1], v10, v[0:3], s[6:7] offset:32 th:TH_ATOMIC_RETURN scope:SCOPE_SYS
	s_wait_loadcnt 0x0
	v_cmp_eq_u64_e32 vcc_lo, v[0:1], v[2:3]
	v_dual_mov_b32 v3, v1 :: v_dual_mov_b32 v2, v0
	s_or_b32 s12, vcc_lo, s12
	s_wait_alu 0xfffe
	s_and_not1_b32 exec_lo, exec_lo, s12
	s_cbranch_execnz .LBB2_175
.LBB2_176:
	s_wait_alu 0xfffe
	s_or_b32 exec_lo, exec_lo, s11
	v_mov_b32_e32 v3, 0
	s_mov_b32 s12, exec_lo
	s_mov_b32 s11, exec_lo
	s_wait_alu 0xfffe
	v_mbcnt_lo_u32_b32 v2, s12, 0
	global_load_b64 v[0:1], v3, s[6:7] offset:16
	v_cmpx_eq_u32_e32 0, v2
	s_cbranch_execz .LBB2_178
; %bb.177:
	s_bcnt1_i32_b32 s12, s12
	s_wait_alu 0xfffe
	v_mov_b32_e32 v2, s12
	global_wb scope:SCOPE_SYS
	s_wait_loadcnt 0x0
	s_wait_storecnt 0x0
	global_atomic_add_u64 v[0:1], v[2:3], off offset:8 scope:SCOPE_SYS
.LBB2_178:
	s_or_b32 exec_lo, exec_lo, s11
	s_wait_loadcnt 0x0
	global_load_b64 v[2:3], v[0:1], off offset:16
	s_wait_loadcnt 0x0
	v_cmp_eq_u64_e32 vcc_lo, 0, v[2:3]
	s_cbranch_vccnz .LBB2_180
; %bb.179:
	global_load_b32 v0, v[0:1], off offset:24
	v_mov_b32_e32 v1, 0
	s_wait_loadcnt 0x0
	v_readfirstlane_b32 s11, v0
	global_wb scope:SCOPE_SYS
	s_wait_storecnt 0x0
	global_store_b64 v[2:3], v[0:1], off scope:SCOPE_SYS
	s_and_b32 m0, s11, 0xffffff
	s_sendmsg sendmsg(MSG_INTERRUPT)
.LBB2_180:
	s_wait_alu 0xfffe
	s_or_b32 exec_lo, exec_lo, s2
	s_branch .LBB2_184
.LBB2_181:                              ;   in Loop: Header=BB2_184 Depth=1
	s_wait_alu 0xfffe
	s_or_b32 exec_lo, exec_lo, s2
	s_delay_alu instid0(VALU_DEP_1)
	v_readfirstlane_b32 s2, v0
	s_cmp_eq_u32 s2, 0
	s_cbranch_scc1 .LBB2_183
; %bb.182:                              ;   in Loop: Header=BB2_184 Depth=1
	s_sleep 1
	s_cbranch_execnz .LBB2_184
	s_branch .LBB2_186
.LBB2_183:
	s_branch .LBB2_186
.LBB2_184:                              ; =>This Inner Loop Header: Depth=1
	v_mov_b32_e32 v0, 1
	s_and_saveexec_b32 s2, s3
	s_cbranch_execz .LBB2_181
; %bb.185:                              ;   in Loop: Header=BB2_184 Depth=1
	global_load_b32 v0, v[8:9], off offset:20 scope:SCOPE_SYS
	s_wait_loadcnt 0x0
	global_inv scope:SCOPE_SYS
	v_and_b32_e32 v0, 1, v0
	s_branch .LBB2_181
.LBB2_186:
	global_load_b64 v[0:1], v[6:7], off
	s_and_saveexec_b32 s11, s3
	s_cbranch_execz .LBB2_190
; %bb.187:
	v_mov_b32_e32 v8, 0
	s_clause 0x2
	global_load_b64 v[2:3], v8, s[6:7] offset:40
	global_load_b64 v[11:12], v8, s[6:7] offset:24 scope:SCOPE_SYS
	global_load_b64 v[4:5], v8, s[6:7]
	s_wait_loadcnt 0x2
	v_readfirstlane_b32 s12, v2
	v_readfirstlane_b32 s13, v3
	s_add_nc_u64 s[2:3], s[12:13], 1
	s_wait_alu 0xfffe
	s_add_nc_u64 s[8:9], s[2:3], s[8:9]
	s_wait_alu 0xfffe
	s_cmp_eq_u64 s[8:9], 0
	s_cselect_b32 s3, s3, s9
	s_cselect_b32 s2, s2, s8
	s_wait_alu 0xfffe
	v_mov_b32_e32 v10, s3
	s_and_b64 s[8:9], s[2:3], s[12:13]
	v_mov_b32_e32 v9, s2
	s_wait_alu 0xfffe
	s_mul_u64 s[8:9], s[8:9], 24
	s_wait_loadcnt 0x0
	s_wait_alu 0xfffe
	v_add_co_u32 v6, vcc_lo, v4, s8
	s_wait_alu 0xfffd
	v_add_co_ci_u32_e64 v7, null, s9, v5, vcc_lo
	global_store_b64 v[6:7], v[11:12], off
	global_wb scope:SCOPE_SYS
	s_wait_storecnt 0x0
	global_atomic_cmpswap_b64 v[4:5], v8, v[9:12], s[6:7] offset:24 th:TH_ATOMIC_RETURN scope:SCOPE_SYS
	s_wait_loadcnt 0x0
	v_cmp_ne_u64_e32 vcc_lo, v[4:5], v[11:12]
	s_and_b32 exec_lo, exec_lo, vcc_lo
	s_cbranch_execz .LBB2_190
; %bb.188:
	s_mov_b32 s8, 0
.LBB2_189:                              ; =>This Inner Loop Header: Depth=1
	v_dual_mov_b32 v2, s2 :: v_dual_mov_b32 v3, s3
	s_sleep 1
	global_store_b64 v[6:7], v[4:5], off
	global_wb scope:SCOPE_SYS
	s_wait_storecnt 0x0
	global_atomic_cmpswap_b64 v[2:3], v8, v[2:5], s[6:7] offset:24 th:TH_ATOMIC_RETURN scope:SCOPE_SYS
	s_wait_loadcnt 0x0
	v_cmp_eq_u64_e32 vcc_lo, v[2:3], v[4:5]
	v_dual_mov_b32 v5, v3 :: v_dual_mov_b32 v4, v2
	s_wait_alu 0xfffe
	s_or_b32 s8, vcc_lo, s8
	s_wait_alu 0xfffe
	s_and_not1_b32 exec_lo, exec_lo, s8
	s_cbranch_execnz .LBB2_189
.LBB2_190:
	s_wait_alu 0xfffe
	s_or_b32 exec_lo, exec_lo, s11
	v_readfirstlane_b32 s2, v32
	v_mov_b32_e32 v8, 0
	v_mov_b32_e32 v9, 0
	s_wait_alu 0xf1ff
	s_delay_alu instid0(VALU_DEP_3)
	v_cmp_eq_u32_e64 s2, s2, v32
	s_and_saveexec_b32 s3, s2
	s_cbranch_execz .LBB2_196
; %bb.191:
	v_mov_b32_e32 v2, 0
	s_mov_b32 s8, exec_lo
	global_load_b64 v[5:6], v2, s[6:7] offset:24 scope:SCOPE_SYS
	s_wait_loadcnt 0x0
	global_inv scope:SCOPE_SYS
	s_clause 0x1
	global_load_b64 v[3:4], v2, s[6:7] offset:40
	global_load_b64 v[7:8], v2, s[6:7]
	s_wait_loadcnt 0x1
	v_and_b32_e32 v4, v4, v6
	v_and_b32_e32 v3, v3, v5
	s_delay_alu instid0(VALU_DEP_2) | instskip(NEXT) | instid1(VALU_DEP_2)
	v_mul_lo_u32 v4, 24, v4
	v_mul_lo_u32 v9, 0, v3
	v_mul_hi_u32 v10, 24, v3
	v_mul_lo_u32 v3, 24, v3
	s_delay_alu instid0(VALU_DEP_3) | instskip(SKIP_1) | instid1(VALU_DEP_2)
	v_add_nc_u32_e32 v4, v4, v9
	s_wait_loadcnt 0x0
	v_add_co_u32 v3, vcc_lo, v7, v3
	s_delay_alu instid0(VALU_DEP_2) | instskip(SKIP_1) | instid1(VALU_DEP_1)
	v_add_nc_u32_e32 v4, v4, v10
	s_wait_alu 0xfffd
	v_add_co_ci_u32_e64 v4, null, v8, v4, vcc_lo
	global_load_b64 v[3:4], v[3:4], off scope:SCOPE_SYS
	s_wait_loadcnt 0x0
	global_atomic_cmpswap_b64 v[8:9], v2, v[3:6], s[6:7] offset:24 th:TH_ATOMIC_RETURN scope:SCOPE_SYS
	s_wait_loadcnt 0x0
	global_inv scope:SCOPE_SYS
	v_cmpx_ne_u64_e64 v[8:9], v[5:6]
	s_cbranch_execz .LBB2_195
; %bb.192:
	s_mov_b32 s9, 0
.LBB2_193:                              ; =>This Inner Loop Header: Depth=1
	s_sleep 1
	s_clause 0x1
	global_load_b64 v[3:4], v2, s[6:7] offset:40
	global_load_b64 v[10:11], v2, s[6:7]
	v_dual_mov_b32 v5, v8 :: v_dual_mov_b32 v6, v9
	s_wait_loadcnt 0x1
	s_delay_alu instid0(VALU_DEP_1) | instskip(NEXT) | instid1(VALU_DEP_2)
	v_and_b32_e32 v3, v3, v5
	v_and_b32_e32 v4, v4, v6
	s_wait_loadcnt 0x0
	s_delay_alu instid0(VALU_DEP_2) | instskip(NEXT) | instid1(VALU_DEP_1)
	v_mad_co_u64_u32 v[7:8], null, v3, 24, v[10:11]
	v_mov_b32_e32 v3, v8
	s_delay_alu instid0(VALU_DEP_1) | instskip(NEXT) | instid1(VALU_DEP_1)
	v_mad_co_u64_u32 v[3:4], null, v4, 24, v[3:4]
	v_mov_b32_e32 v8, v3
	global_load_b64 v[3:4], v[7:8], off scope:SCOPE_SYS
	s_wait_loadcnt 0x0
	global_atomic_cmpswap_b64 v[8:9], v2, v[3:6], s[6:7] offset:24 th:TH_ATOMIC_RETURN scope:SCOPE_SYS
	s_wait_loadcnt 0x0
	global_inv scope:SCOPE_SYS
	v_cmp_eq_u64_e32 vcc_lo, v[8:9], v[5:6]
	s_wait_alu 0xfffe
	s_or_b32 s9, vcc_lo, s9
	s_wait_alu 0xfffe
	s_and_not1_b32 exec_lo, exec_lo, s9
	s_cbranch_execnz .LBB2_193
; %bb.194:
	s_or_b32 exec_lo, exec_lo, s9
.LBB2_195:
	s_wait_alu 0xfffe
	s_or_b32 exec_lo, exec_lo, s8
.LBB2_196:
	s_wait_alu 0xfffe
	s_or_b32 exec_lo, exec_lo, s3
	v_readfirstlane_b32 s8, v8
	v_mov_b32_e32 v3, 0
	v_readfirstlane_b32 s9, v9
	s_mov_b32 s3, exec_lo
	s_clause 0x1
	global_load_b64 v[10:11], v3, s[6:7] offset:40
	global_load_b128 v[4:7], v3, s[6:7]
	s_wait_loadcnt 0x1
	s_wait_alu 0xf1ff
	v_and_b32_e32 v11, s9, v11
	v_and_b32_e32 v10, s8, v10
	s_delay_alu instid0(VALU_DEP_2) | instskip(NEXT) | instid1(VALU_DEP_2)
	v_mul_lo_u32 v2, 24, v11
	v_mul_lo_u32 v8, 0, v10
	v_mul_hi_u32 v9, 24, v10
	v_mul_lo_u32 v12, 24, v10
	s_delay_alu instid0(VALU_DEP_3) | instskip(SKIP_1) | instid1(VALU_DEP_2)
	v_add_nc_u32_e32 v2, v2, v8
	s_wait_loadcnt 0x0
	v_add_co_u32 v8, vcc_lo, v4, v12
	s_delay_alu instid0(VALU_DEP_2) | instskip(SKIP_1) | instid1(VALU_DEP_1)
	v_add_nc_u32_e32 v2, v2, v9
	s_wait_alu 0xfffd
	v_add_co_ci_u32_e64 v9, null, v5, v2, vcc_lo
	s_and_saveexec_b32 s11, s2
	s_cbranch_execz .LBB2_198
; %bb.197:
	s_wait_alu 0xfffe
	v_dual_mov_b32 v2, s3 :: v_dual_mov_b32 v15, 1
	v_dual_mov_b32 v14, 2 :: v_dual_mov_b32 v13, v3
	s_delay_alu instid0(VALU_DEP_2)
	v_mov_b32_e32 v12, v2
	global_store_b128 v[8:9], v[12:15], off offset:8
.LBB2_198:
	s_wait_alu 0xfffe
	s_or_b32 exec_lo, exec_lo, s11
	v_lshlrev_b64_e32 v[10:11], 12, v[10:11]
	s_mul_i32 s10, s10, s20
	s_mov_b32 s12, 0
	s_wait_alu 0xfffe
	s_lshr_b32 s3, s10, 1
	s_mov_b32 s13, s12
	s_mov_b32 s14, s12
	v_add_co_u32 v6, vcc_lo, v6, v10
	s_wait_alu 0xfffd
	v_add_co_ci_u32_e64 v7, null, v7, v11, vcc_lo
	s_mov_b32 s15, s12
	v_and_or_b32 v0, 0xffffff1d, v0, 34
	s_wait_alu 0xfffe
	v_mov_b32_e32 v2, s3
	v_readfirstlane_b32 s10, v6
	v_readfirstlane_b32 s11, v7
	v_dual_mov_b32 v10, s12 :: v_dual_mov_b32 v13, s15
	v_dual_mov_b32 v11, s13 :: v_dual_mov_b32 v12, s14
	s_clause 0x3
	global_store_b128 v28, v[0:3], s[10:11]
	global_store_b128 v28, v[10:13], s[10:11] offset:16
	global_store_b128 v28, v[10:13], s[10:11] offset:32
	;; [unrolled: 1-line block ×3, first 2 shown]
	s_and_saveexec_b32 s3, s2
	s_cbranch_execz .LBB2_206
; %bb.199:
	v_mov_b32_e32 v6, 0
	s_mov_b32 s10, exec_lo
	s_clause 0x1
	global_load_b64 v[12:13], v6, s[6:7] offset:32 scope:SCOPE_SYS
	global_load_b64 v[0:1], v6, s[6:7] offset:40
	v_dual_mov_b32 v11, s9 :: v_dual_mov_b32 v10, s8
	s_wait_loadcnt 0x0
	v_and_b32_e32 v1, s9, v1
	v_and_b32_e32 v0, s8, v0
	s_delay_alu instid0(VALU_DEP_2) | instskip(NEXT) | instid1(VALU_DEP_2)
	v_mul_lo_u32 v1, 24, v1
	v_mul_lo_u32 v2, 0, v0
	v_mul_hi_u32 v3, 24, v0
	v_mul_lo_u32 v0, 24, v0
	s_delay_alu instid0(VALU_DEP_3) | instskip(NEXT) | instid1(VALU_DEP_2)
	v_add_nc_u32_e32 v1, v1, v2
	v_add_co_u32 v4, vcc_lo, v4, v0
	s_delay_alu instid0(VALU_DEP_2) | instskip(SKIP_1) | instid1(VALU_DEP_1)
	v_add_nc_u32_e32 v1, v1, v3
	s_wait_alu 0xfffd
	v_add_co_ci_u32_e64 v5, null, v5, v1, vcc_lo
	global_store_b64 v[4:5], v[12:13], off
	global_wb scope:SCOPE_SYS
	s_wait_storecnt 0x0
	global_atomic_cmpswap_b64 v[2:3], v6, v[10:13], s[6:7] offset:32 th:TH_ATOMIC_RETURN scope:SCOPE_SYS
	s_wait_loadcnt 0x0
	v_cmpx_ne_u64_e64 v[2:3], v[12:13]
	s_cbranch_execz .LBB2_202
; %bb.200:
	s_mov_b32 s11, 0
.LBB2_201:                              ; =>This Inner Loop Header: Depth=1
	v_dual_mov_b32 v0, s8 :: v_dual_mov_b32 v1, s9
	s_sleep 1
	global_store_b64 v[4:5], v[2:3], off
	global_wb scope:SCOPE_SYS
	s_wait_storecnt 0x0
	global_atomic_cmpswap_b64 v[0:1], v6, v[0:3], s[6:7] offset:32 th:TH_ATOMIC_RETURN scope:SCOPE_SYS
	s_wait_loadcnt 0x0
	v_cmp_eq_u64_e32 vcc_lo, v[0:1], v[2:3]
	v_dual_mov_b32 v3, v1 :: v_dual_mov_b32 v2, v0
	s_wait_alu 0xfffe
	s_or_b32 s11, vcc_lo, s11
	s_wait_alu 0xfffe
	s_and_not1_b32 exec_lo, exec_lo, s11
	s_cbranch_execnz .LBB2_201
.LBB2_202:
	s_wait_alu 0xfffe
	s_or_b32 exec_lo, exec_lo, s10
	v_mov_b32_e32 v3, 0
	s_mov_b32 s11, exec_lo
	s_mov_b32 s10, exec_lo
	s_wait_alu 0xfffe
	v_mbcnt_lo_u32_b32 v2, s11, 0
	global_load_b64 v[0:1], v3, s[6:7] offset:16
	v_cmpx_eq_u32_e32 0, v2
	s_cbranch_execz .LBB2_204
; %bb.203:
	s_bcnt1_i32_b32 s11, s11
	s_wait_alu 0xfffe
	v_mov_b32_e32 v2, s11
	global_wb scope:SCOPE_SYS
	s_wait_loadcnt 0x0
	s_wait_storecnt 0x0
	global_atomic_add_u64 v[0:1], v[2:3], off offset:8 scope:SCOPE_SYS
.LBB2_204:
	s_or_b32 exec_lo, exec_lo, s10
	s_wait_loadcnt 0x0
	global_load_b64 v[2:3], v[0:1], off offset:16
	s_wait_loadcnt 0x0
	v_cmp_eq_u64_e32 vcc_lo, 0, v[2:3]
	s_cbranch_vccnz .LBB2_206
; %bb.205:
	global_load_b32 v0, v[0:1], off offset:24
	v_mov_b32_e32 v1, 0
	s_wait_loadcnt 0x0
	v_readfirstlane_b32 s10, v0
	global_wb scope:SCOPE_SYS
	s_wait_storecnt 0x0
	global_store_b64 v[2:3], v[0:1], off scope:SCOPE_SYS
	s_and_b32 m0, s10, 0xffffff
	s_sendmsg sendmsg(MSG_INTERRUPT)
.LBB2_206:
	s_wait_alu 0xfffe
	s_or_b32 exec_lo, exec_lo, s3
	s_branch .LBB2_210
.LBB2_207:                              ;   in Loop: Header=BB2_210 Depth=1
	s_wait_alu 0xfffe
	s_or_b32 exec_lo, exec_lo, s3
	s_delay_alu instid0(VALU_DEP_1)
	v_readfirstlane_b32 s3, v0
	s_cmp_eq_u32 s3, 0
	s_cbranch_scc1 .LBB2_209
; %bb.208:                              ;   in Loop: Header=BB2_210 Depth=1
	s_sleep 1
	s_cbranch_execnz .LBB2_210
	s_branch .LBB2_212
.LBB2_209:
	s_branch .LBB2_212
.LBB2_210:                              ; =>This Inner Loop Header: Depth=1
	v_mov_b32_e32 v0, 1
	s_and_saveexec_b32 s3, s2
	s_cbranch_execz .LBB2_207
; %bb.211:                              ;   in Loop: Header=BB2_210 Depth=1
	global_load_b32 v0, v[8:9], off offset:20 scope:SCOPE_SYS
	s_wait_loadcnt 0x0
	global_inv scope:SCOPE_SYS
	v_and_b32_e32 v0, 1, v0
	s_branch .LBB2_207
.LBB2_212:
	s_and_saveexec_b32 s10, s2
	s_cbranch_execz .LBB2_216
; %bb.213:
	v_mov_b32_e32 v6, 0
	s_clause 0x2
	global_load_b64 v[0:1], v6, s[6:7] offset:40
	global_load_b64 v[9:10], v6, s[6:7] offset:24 scope:SCOPE_SYS
	global_load_b64 v[2:3], v6, s[6:7]
	s_wait_loadcnt 0x2
	v_readfirstlane_b32 s12, v0
	v_readfirstlane_b32 s13, v1
	s_add_nc_u64 s[2:3], s[12:13], 1
	s_wait_alu 0xfffe
	s_add_nc_u64 s[8:9], s[2:3], s[8:9]
	s_wait_alu 0xfffe
	s_cmp_eq_u64 s[8:9], 0
	s_cselect_b32 s3, s3, s9
	s_cselect_b32 s2, s2, s8
	s_wait_alu 0xfffe
	v_mov_b32_e32 v8, s3
	s_and_b64 s[8:9], s[2:3], s[12:13]
	v_mov_b32_e32 v7, s2
	s_wait_alu 0xfffe
	s_mul_u64 s[8:9], s[8:9], 24
	s_wait_loadcnt 0x0
	s_wait_alu 0xfffe
	v_add_co_u32 v4, vcc_lo, v2, s8
	s_wait_alu 0xfffd
	v_add_co_ci_u32_e64 v5, null, s9, v3, vcc_lo
	global_store_b64 v[4:5], v[9:10], off
	global_wb scope:SCOPE_SYS
	s_wait_storecnt 0x0
	global_atomic_cmpswap_b64 v[2:3], v6, v[7:10], s[6:7] offset:24 th:TH_ATOMIC_RETURN scope:SCOPE_SYS
	s_wait_loadcnt 0x0
	v_cmp_ne_u64_e32 vcc_lo, v[2:3], v[9:10]
	s_and_b32 exec_lo, exec_lo, vcc_lo
	s_cbranch_execz .LBB2_216
; %bb.214:
	s_mov_b32 s8, 0
.LBB2_215:                              ; =>This Inner Loop Header: Depth=1
	v_dual_mov_b32 v0, s2 :: v_dual_mov_b32 v1, s3
	s_sleep 1
	global_store_b64 v[4:5], v[2:3], off
	global_wb scope:SCOPE_SYS
	s_wait_storecnt 0x0
	global_atomic_cmpswap_b64 v[0:1], v6, v[0:3], s[6:7] offset:24 th:TH_ATOMIC_RETURN scope:SCOPE_SYS
	s_wait_loadcnt 0x0
	v_cmp_eq_u64_e32 vcc_lo, v[0:1], v[2:3]
	v_dual_mov_b32 v3, v1 :: v_dual_mov_b32 v2, v0
	s_wait_alu 0xfffe
	s_or_b32 s8, vcc_lo, s8
	s_wait_alu 0xfffe
	s_and_not1_b32 exec_lo, exec_lo, s8
	s_cbranch_execnz .LBB2_215
.LBB2_216:
	s_wait_alu 0xfffe
	s_or_b32 exec_lo, exec_lo, s10
	v_readfirstlane_b32 s2, v32
	v_mov_b32_e32 v6, 0
	v_mov_b32_e32 v7, 0
	s_wait_alu 0xf1ff
	s_delay_alu instid0(VALU_DEP_3)
	v_cmp_eq_u32_e64 s2, s2, v32
	s_and_saveexec_b32 s3, s2
	s_cbranch_execz .LBB2_222
; %bb.217:
	v_mov_b32_e32 v0, 0
	s_mov_b32 s8, exec_lo
	global_load_b64 v[3:4], v0, s[6:7] offset:24 scope:SCOPE_SYS
	s_wait_loadcnt 0x0
	global_inv scope:SCOPE_SYS
	s_clause 0x1
	global_load_b64 v[1:2], v0, s[6:7] offset:40
	global_load_b64 v[5:6], v0, s[6:7]
	s_wait_loadcnt 0x1
	v_and_b32_e32 v2, v2, v4
	v_and_b32_e32 v1, v1, v3
	s_delay_alu instid0(VALU_DEP_2) | instskip(NEXT) | instid1(VALU_DEP_2)
	v_mul_lo_u32 v2, 24, v2
	v_mul_lo_u32 v7, 0, v1
	v_mul_hi_u32 v8, 24, v1
	v_mul_lo_u32 v1, 24, v1
	s_delay_alu instid0(VALU_DEP_3) | instskip(SKIP_1) | instid1(VALU_DEP_2)
	v_add_nc_u32_e32 v2, v2, v7
	s_wait_loadcnt 0x0
	v_add_co_u32 v1, vcc_lo, v5, v1
	s_delay_alu instid0(VALU_DEP_2) | instskip(SKIP_1) | instid1(VALU_DEP_1)
	v_add_nc_u32_e32 v2, v2, v8
	s_wait_alu 0xfffd
	v_add_co_ci_u32_e64 v2, null, v6, v2, vcc_lo
	global_load_b64 v[1:2], v[1:2], off scope:SCOPE_SYS
	s_wait_loadcnt 0x0
	global_atomic_cmpswap_b64 v[6:7], v0, v[1:4], s[6:7] offset:24 th:TH_ATOMIC_RETURN scope:SCOPE_SYS
	s_wait_loadcnt 0x0
	global_inv scope:SCOPE_SYS
	v_cmpx_ne_u64_e64 v[6:7], v[3:4]
	s_cbranch_execz .LBB2_221
; %bb.218:
	s_mov_b32 s9, 0
.LBB2_219:                              ; =>This Inner Loop Header: Depth=1
	s_sleep 1
	s_clause 0x1
	global_load_b64 v[1:2], v0, s[6:7] offset:40
	global_load_b64 v[8:9], v0, s[6:7]
	v_dual_mov_b32 v3, v6 :: v_dual_mov_b32 v4, v7
	s_wait_loadcnt 0x1
	s_delay_alu instid0(VALU_DEP_1) | instskip(NEXT) | instid1(VALU_DEP_2)
	v_and_b32_e32 v1, v1, v3
	v_and_b32_e32 v2, v2, v4
	s_wait_loadcnt 0x0
	s_delay_alu instid0(VALU_DEP_2) | instskip(NEXT) | instid1(VALU_DEP_1)
	v_mad_co_u64_u32 v[5:6], null, v1, 24, v[8:9]
	v_mov_b32_e32 v1, v6
	s_delay_alu instid0(VALU_DEP_1) | instskip(NEXT) | instid1(VALU_DEP_1)
	v_mad_co_u64_u32 v[1:2], null, v2, 24, v[1:2]
	v_mov_b32_e32 v6, v1
	global_load_b64 v[1:2], v[5:6], off scope:SCOPE_SYS
	s_wait_loadcnt 0x0
	global_atomic_cmpswap_b64 v[6:7], v0, v[1:4], s[6:7] offset:24 th:TH_ATOMIC_RETURN scope:SCOPE_SYS
	s_wait_loadcnt 0x0
	global_inv scope:SCOPE_SYS
	v_cmp_eq_u64_e32 vcc_lo, v[6:7], v[3:4]
	s_wait_alu 0xfffe
	s_or_b32 s9, vcc_lo, s9
	s_wait_alu 0xfffe
	s_and_not1_b32 exec_lo, exec_lo, s9
	s_cbranch_execnz .LBB2_219
; %bb.220:
	s_or_b32 exec_lo, exec_lo, s9
.LBB2_221:
	s_wait_alu 0xfffe
	s_or_b32 exec_lo, exec_lo, s8
.LBB2_222:
	s_wait_alu 0xfffe
	s_or_b32 exec_lo, exec_lo, s3
	v_readfirstlane_b32 s8, v6
	v_mov_b32_e32 v5, 0
	v_readfirstlane_b32 s9, v7
	s_mov_b32 s3, exec_lo
	s_clause 0x1
	global_load_b64 v[8:9], v5, s[6:7] offset:40
	global_load_b128 v[0:3], v5, s[6:7]
	s_wait_loadcnt 0x1
	s_wait_alu 0xf1ff
	v_and_b32_e32 v11, s9, v9
	v_and_b32_e32 v10, s8, v8
	s_delay_alu instid0(VALU_DEP_2) | instskip(NEXT) | instid1(VALU_DEP_2)
	v_mul_lo_u32 v4, 24, v11
	v_mul_lo_u32 v6, 0, v10
	v_mul_hi_u32 v7, 24, v10
	v_mul_lo_u32 v8, 24, v10
	s_delay_alu instid0(VALU_DEP_3) | instskip(SKIP_1) | instid1(VALU_DEP_2)
	v_add_nc_u32_e32 v4, v4, v6
	s_wait_loadcnt 0x0
	v_add_co_u32 v8, vcc_lo, v0, v8
	s_delay_alu instid0(VALU_DEP_2) | instskip(SKIP_1) | instid1(VALU_DEP_1)
	v_add_nc_u32_e32 v4, v4, v7
	s_wait_alu 0xfffd
	v_add_co_ci_u32_e64 v9, null, v1, v4, vcc_lo
	s_and_saveexec_b32 s10, s2
	s_cbranch_execz .LBB2_224
; %bb.223:
	s_wait_alu 0xfffe
	v_dual_mov_b32 v4, s3 :: v_dual_mov_b32 v7, 1
	v_mov_b32_e32 v6, 2
	global_store_b128 v[8:9], v[4:7], off offset:8
.LBB2_224:
	s_wait_alu 0xfffe
	s_or_b32 exec_lo, exec_lo, s10
	v_lshlrev_b64_e32 v[10:11], 12, v[10:11]
	s_mov_b32 s12, 0
	v_dual_mov_b32 v4, 33 :: v_dual_mov_b32 v7, v5
	s_wait_alu 0xfffe
	s_mov_b32 s13, s12
	s_mov_b32 s14, s12
	v_add_co_u32 v2, vcc_lo, v2, v10
	s_wait_alu 0xfffd
	v_add_co_ci_u32_e64 v3, null, v3, v11, vcc_lo
	s_mov_b32 s15, s12
	v_add_co_u32 v10, vcc_lo, v2, v28
	v_mov_b32_e32 v6, v5
	v_readfirstlane_b32 s10, v2
	v_readfirstlane_b32 s11, v3
	s_wait_alu 0xfffe
	v_dual_mov_b32 v12, s12 :: v_dual_mov_b32 v15, s15
	s_wait_alu 0xfffd
	v_add_co_ci_u32_e64 v11, null, 0, v3, vcc_lo
	v_dual_mov_b32 v13, s13 :: v_dual_mov_b32 v14, s14
	s_clause 0x3
	global_store_b128 v28, v[4:7], s[10:11]
	global_store_b128 v28, v[12:15], s[10:11] offset:16
	global_store_b128 v28, v[12:15], s[10:11] offset:32
	;; [unrolled: 1-line block ×3, first 2 shown]
	s_and_saveexec_b32 s3, s2
	s_cbranch_execz .LBB2_232
; %bb.225:
	v_mov_b32_e32 v6, 0
	s_mov_b32 s10, exec_lo
	s_clause 0x1
	global_load_b64 v[14:15], v6, s[6:7] offset:32 scope:SCOPE_SYS
	global_load_b64 v[2:3], v6, s[6:7] offset:40
	v_dual_mov_b32 v13, s9 :: v_dual_mov_b32 v12, s8
	s_wait_loadcnt 0x0
	v_and_b32_e32 v3, s9, v3
	v_and_b32_e32 v2, s8, v2
	s_delay_alu instid0(VALU_DEP_2) | instskip(NEXT) | instid1(VALU_DEP_2)
	v_mul_lo_u32 v3, 24, v3
	v_mul_lo_u32 v4, 0, v2
	v_mul_hi_u32 v5, 24, v2
	v_mul_lo_u32 v2, 24, v2
	s_delay_alu instid0(VALU_DEP_3) | instskip(NEXT) | instid1(VALU_DEP_2)
	v_add_nc_u32_e32 v3, v3, v4
	v_add_co_u32 v4, vcc_lo, v0, v2
	s_delay_alu instid0(VALU_DEP_2) | instskip(SKIP_1) | instid1(VALU_DEP_1)
	v_add_nc_u32_e32 v3, v3, v5
	s_wait_alu 0xfffd
	v_add_co_ci_u32_e64 v5, null, v1, v3, vcc_lo
	global_store_b64 v[4:5], v[14:15], off
	global_wb scope:SCOPE_SYS
	s_wait_storecnt 0x0
	global_atomic_cmpswap_b64 v[2:3], v6, v[12:15], s[6:7] offset:32 th:TH_ATOMIC_RETURN scope:SCOPE_SYS
	s_wait_loadcnt 0x0
	v_cmpx_ne_u64_e64 v[2:3], v[14:15]
	s_cbranch_execz .LBB2_228
; %bb.226:
	s_mov_b32 s11, 0
.LBB2_227:                              ; =>This Inner Loop Header: Depth=1
	v_dual_mov_b32 v0, s8 :: v_dual_mov_b32 v1, s9
	s_sleep 1
	global_store_b64 v[4:5], v[2:3], off
	global_wb scope:SCOPE_SYS
	s_wait_storecnt 0x0
	global_atomic_cmpswap_b64 v[0:1], v6, v[0:3], s[6:7] offset:32 th:TH_ATOMIC_RETURN scope:SCOPE_SYS
	s_wait_loadcnt 0x0
	v_cmp_eq_u64_e32 vcc_lo, v[0:1], v[2:3]
	v_dual_mov_b32 v3, v1 :: v_dual_mov_b32 v2, v0
	s_wait_alu 0xfffe
	s_or_b32 s11, vcc_lo, s11
	s_wait_alu 0xfffe
	s_and_not1_b32 exec_lo, exec_lo, s11
	s_cbranch_execnz .LBB2_227
.LBB2_228:
	s_wait_alu 0xfffe
	s_or_b32 exec_lo, exec_lo, s10
	v_mov_b32_e32 v3, 0
	s_mov_b32 s11, exec_lo
	s_mov_b32 s10, exec_lo
	s_wait_alu 0xfffe
	v_mbcnt_lo_u32_b32 v2, s11, 0
	global_load_b64 v[0:1], v3, s[6:7] offset:16
	v_cmpx_eq_u32_e32 0, v2
	s_cbranch_execz .LBB2_230
; %bb.229:
	s_bcnt1_i32_b32 s11, s11
	s_wait_alu 0xfffe
	v_mov_b32_e32 v2, s11
	global_wb scope:SCOPE_SYS
	s_wait_loadcnt 0x0
	s_wait_storecnt 0x0
	global_atomic_add_u64 v[0:1], v[2:3], off offset:8 scope:SCOPE_SYS
.LBB2_230:
	s_or_b32 exec_lo, exec_lo, s10
	s_wait_loadcnt 0x0
	global_load_b64 v[2:3], v[0:1], off offset:16
	s_wait_loadcnt 0x0
	v_cmp_eq_u64_e32 vcc_lo, 0, v[2:3]
	s_cbranch_vccnz .LBB2_232
; %bb.231:
	global_load_b32 v0, v[0:1], off offset:24
	v_mov_b32_e32 v1, 0
	s_wait_loadcnt 0x0
	v_readfirstlane_b32 s10, v0
	global_wb scope:SCOPE_SYS
	s_wait_storecnt 0x0
	global_store_b64 v[2:3], v[0:1], off scope:SCOPE_SYS
	s_and_b32 m0, s10, 0xffffff
	s_sendmsg sendmsg(MSG_INTERRUPT)
.LBB2_232:
	s_wait_alu 0xfffe
	s_or_b32 exec_lo, exec_lo, s3
	s_branch .LBB2_236
.LBB2_233:                              ;   in Loop: Header=BB2_236 Depth=1
	s_wait_alu 0xfffe
	s_or_b32 exec_lo, exec_lo, s3
	s_delay_alu instid0(VALU_DEP_1)
	v_readfirstlane_b32 s3, v0
	s_cmp_eq_u32 s3, 0
	s_cbranch_scc1 .LBB2_235
; %bb.234:                              ;   in Loop: Header=BB2_236 Depth=1
	s_sleep 1
	s_cbranch_execnz .LBB2_236
	s_branch .LBB2_238
.LBB2_235:
	s_branch .LBB2_238
.LBB2_236:                              ; =>This Inner Loop Header: Depth=1
	v_mov_b32_e32 v0, 1
	s_and_saveexec_b32 s3, s2
	s_cbranch_execz .LBB2_233
; %bb.237:                              ;   in Loop: Header=BB2_236 Depth=1
	global_load_b32 v0, v[8:9], off offset:20 scope:SCOPE_SYS
	s_wait_loadcnt 0x0
	global_inv scope:SCOPE_SYS
	v_and_b32_e32 v0, 1, v0
	s_branch .LBB2_233
.LBB2_238:
	global_load_b64 v[0:1], v[10:11], off
	s_and_saveexec_b32 s10, s2
	s_cbranch_execz .LBB2_242
; %bb.239:
	v_mov_b32_e32 v8, 0
	s_clause 0x2
	global_load_b64 v[2:3], v8, s[6:7] offset:40
	global_load_b64 v[11:12], v8, s[6:7] offset:24 scope:SCOPE_SYS
	global_load_b64 v[4:5], v8, s[6:7]
	s_wait_loadcnt 0x2
	v_readfirstlane_b32 s12, v2
	v_readfirstlane_b32 s13, v3
	s_add_nc_u64 s[2:3], s[12:13], 1
	s_wait_alu 0xfffe
	s_add_nc_u64 s[8:9], s[2:3], s[8:9]
	s_wait_alu 0xfffe
	s_cmp_eq_u64 s[8:9], 0
	s_cselect_b32 s3, s3, s9
	s_cselect_b32 s2, s2, s8
	s_wait_alu 0xfffe
	v_mov_b32_e32 v10, s3
	s_and_b64 s[8:9], s[2:3], s[12:13]
	v_mov_b32_e32 v9, s2
	s_wait_alu 0xfffe
	s_mul_u64 s[8:9], s[8:9], 24
	s_wait_loadcnt 0x0
	s_wait_alu 0xfffe
	v_add_co_u32 v6, vcc_lo, v4, s8
	s_wait_alu 0xfffd
	v_add_co_ci_u32_e64 v7, null, s9, v5, vcc_lo
	global_store_b64 v[6:7], v[11:12], off
	global_wb scope:SCOPE_SYS
	s_wait_storecnt 0x0
	global_atomic_cmpswap_b64 v[4:5], v8, v[9:12], s[6:7] offset:24 th:TH_ATOMIC_RETURN scope:SCOPE_SYS
	s_wait_loadcnt 0x0
	v_cmp_ne_u64_e32 vcc_lo, v[4:5], v[11:12]
	s_and_b32 exec_lo, exec_lo, vcc_lo
	s_cbranch_execz .LBB2_242
; %bb.240:
	s_mov_b32 s8, 0
.LBB2_241:                              ; =>This Inner Loop Header: Depth=1
	v_dual_mov_b32 v2, s2 :: v_dual_mov_b32 v3, s3
	s_sleep 1
	global_store_b64 v[6:7], v[4:5], off
	global_wb scope:SCOPE_SYS
	s_wait_storecnt 0x0
	global_atomic_cmpswap_b64 v[2:3], v8, v[2:5], s[6:7] offset:24 th:TH_ATOMIC_RETURN scope:SCOPE_SYS
	s_wait_loadcnt 0x0
	v_cmp_eq_u64_e32 vcc_lo, v[2:3], v[4:5]
	v_dual_mov_b32 v5, v3 :: v_dual_mov_b32 v4, v2
	s_wait_alu 0xfffe
	s_or_b32 s8, vcc_lo, s8
	s_wait_alu 0xfffe
	s_and_not1_b32 exec_lo, exec_lo, s8
	s_cbranch_execnz .LBB2_241
.LBB2_242:
	s_wait_alu 0xfffe
	s_or_b32 exec_lo, exec_lo, s10
	s_getpc_b64 s[8:9]
	s_wait_alu 0xfffe
	s_sext_i32_i16 s9, s9
	s_add_co_u32 s8, s8, .str.1@rel32@lo+12
	s_wait_alu 0xfffe
	s_add_co_ci_u32 s9, s9, .str.1@rel32@hi+24
	s_wait_alu 0xfffe
	s_cmp_lg_u64 s[8:9], 0
	s_cbranch_scc0 .LBB2_321
; %bb.243:
	s_wait_loadcnt 0x0
	v_dual_mov_b32 v8, 2 :: v_dual_and_b32 v33, 2, v0
	v_dual_mov_b32 v7, 0 :: v_dual_and_b32 v2, -3, v0
	v_mov_b32_e32 v3, v1
	v_mov_b32_e32 v9, 1
	s_mov_b64 s[10:11], 48
	s_branch .LBB2_245
.LBB2_244:                              ;   in Loop: Header=BB2_245 Depth=1
	s_wait_alu 0xfffe
	s_or_b32 exec_lo, exec_lo, s16
	s_sub_nc_u64 s[10:11], s[10:11], s[12:13]
	s_add_nc_u64 s[8:9], s[8:9], s[12:13]
	s_wait_alu 0xfffe
	s_cmp_lg_u64 s[10:11], 0
	s_cbranch_scc0 .LBB2_320
.LBB2_245:                              ; =>This Loop Header: Depth=1
                                        ;     Child Loop BB2_248 Depth 2
                                        ;     Child Loop BB2_255 Depth 2
	;; [unrolled: 1-line block ×11, first 2 shown]
	s_wait_alu 0xfffe
	v_cmp_lt_u64_e64 s2, s[10:11], 56
	v_cmp_gt_u64_e64 s3, s[10:11], 7
	s_and_b32 s2, s2, exec_lo
	s_cselect_b32 s13, s11, 0
	s_cselect_b32 s12, s10, 56
	s_and_b32 vcc_lo, exec_lo, s3
	s_wait_alu 0xfffe
	s_cbranch_vccnz .LBB2_250
; %bb.246:                              ;   in Loop: Header=BB2_245 Depth=1
	v_mov_b32_e32 v4, 0
	v_mov_b32_e32 v5, 0
	s_cmp_eq_u64 s[10:11], 0
	s_cbranch_scc1 .LBB2_249
; %bb.247:                              ;   in Loop: Header=BB2_245 Depth=1
	s_mov_b64 s[2:3], 0
	s_mov_b64 s[14:15], 0
.LBB2_248:                              ;   Parent Loop BB2_245 Depth=1
                                        ; =>  This Inner Loop Header: Depth=2
	s_wait_alu 0xfffe
	s_add_nc_u64 s[16:17], s[8:9], s[14:15]
	s_add_nc_u64 s[14:15], s[14:15], 1
	global_load_u8 v6, v7, s[16:17]
	s_wait_alu 0xfffe
	s_cmp_lg_u32 s12, s14
	s_wait_loadcnt 0x0
	v_and_b32_e32 v6, 0xffff, v6
	s_delay_alu instid0(VALU_DEP_1) | instskip(SKIP_1) | instid1(VALU_DEP_1)
	v_lshlrev_b64_e32 v[10:11], s2, v[6:7]
	s_add_nc_u64 s[2:3], s[2:3], 8
	v_or_b32_e32 v4, v10, v4
	s_delay_alu instid0(VALU_DEP_2)
	v_or_b32_e32 v5, v11, v5
	s_cbranch_scc1 .LBB2_248
.LBB2_249:                              ;   in Loop: Header=BB2_245 Depth=1
	s_mov_b64 s[14:15], s[8:9]
	s_mov_b32 s18, 0
	s_cbranch_execz .LBB2_251
	s_branch .LBB2_252
.LBB2_250:                              ;   in Loop: Header=BB2_245 Depth=1
	s_add_nc_u64 s[14:15], s[8:9], 8
	s_mov_b32 s18, 0
.LBB2_251:                              ;   in Loop: Header=BB2_245 Depth=1
	global_load_b64 v[4:5], v7, s[8:9]
	s_add_co_i32 s18, s12, -8
.LBB2_252:                              ;   in Loop: Header=BB2_245 Depth=1
	s_wait_alu 0xfffe
	s_cmp_gt_u32 s18, 7
	s_cbranch_scc1 .LBB2_257
; %bb.253:                              ;   in Loop: Header=BB2_245 Depth=1
	v_mov_b32_e32 v10, 0
	v_mov_b32_e32 v11, 0
	s_cmp_eq_u32 s18, 0
	s_cbranch_scc1 .LBB2_256
; %bb.254:                              ;   in Loop: Header=BB2_245 Depth=1
	s_mov_b64 s[2:3], 0
	s_mov_b64 s[16:17], 0
.LBB2_255:                              ;   Parent Loop BB2_245 Depth=1
                                        ; =>  This Inner Loop Header: Depth=2
	s_wait_alu 0xfffe
	s_add_nc_u64 s[24:25], s[14:15], s[16:17]
	s_add_nc_u64 s[16:17], s[16:17], 1
	global_load_u8 v6, v7, s[24:25]
	s_wait_alu 0xfffe
	s_cmp_lg_u32 s18, s16
	s_wait_loadcnt 0x0
	v_and_b32_e32 v6, 0xffff, v6
	s_delay_alu instid0(VALU_DEP_1) | instskip(SKIP_1) | instid1(VALU_DEP_1)
	v_lshlrev_b64_e32 v[12:13], s2, v[6:7]
	s_add_nc_u64 s[2:3], s[2:3], 8
	v_or_b32_e32 v10, v12, v10
	s_delay_alu instid0(VALU_DEP_2)
	v_or_b32_e32 v11, v13, v11
	s_cbranch_scc1 .LBB2_255
.LBB2_256:                              ;   in Loop: Header=BB2_245 Depth=1
	s_mov_b64 s[2:3], s[14:15]
	s_mov_b32 s19, 0
	s_cbranch_execz .LBB2_258
	s_branch .LBB2_259
.LBB2_257:                              ;   in Loop: Header=BB2_245 Depth=1
	s_add_nc_u64 s[2:3], s[14:15], 8
                                        ; implicit-def: $vgpr10_vgpr11
	s_mov_b32 s19, 0
.LBB2_258:                              ;   in Loop: Header=BB2_245 Depth=1
	global_load_b64 v[10:11], v7, s[14:15]
	s_add_co_i32 s19, s18, -8
.LBB2_259:                              ;   in Loop: Header=BB2_245 Depth=1
	s_wait_alu 0xfffe
	s_cmp_gt_u32 s19, 7
	s_cbranch_scc1 .LBB2_264
; %bb.260:                              ;   in Loop: Header=BB2_245 Depth=1
	v_mov_b32_e32 v12, 0
	v_mov_b32_e32 v13, 0
	s_cmp_eq_u32 s19, 0
	s_cbranch_scc1 .LBB2_263
; %bb.261:                              ;   in Loop: Header=BB2_245 Depth=1
	s_mov_b64 s[14:15], 0
	s_mov_b64 s[16:17], 0
.LBB2_262:                              ;   Parent Loop BB2_245 Depth=1
                                        ; =>  This Inner Loop Header: Depth=2
	s_wait_alu 0xfffe
	s_add_nc_u64 s[24:25], s[2:3], s[16:17]
	s_add_nc_u64 s[16:17], s[16:17], 1
	global_load_u8 v6, v7, s[24:25]
	s_wait_alu 0xfffe
	s_cmp_lg_u32 s19, s16
	s_wait_loadcnt 0x0
	v_and_b32_e32 v6, 0xffff, v6
	s_delay_alu instid0(VALU_DEP_1) | instskip(SKIP_1) | instid1(VALU_DEP_1)
	v_lshlrev_b64_e32 v[14:15], s14, v[6:7]
	s_add_nc_u64 s[14:15], s[14:15], 8
	v_or_b32_e32 v12, v14, v12
	s_delay_alu instid0(VALU_DEP_2)
	v_or_b32_e32 v13, v15, v13
	s_cbranch_scc1 .LBB2_262
.LBB2_263:                              ;   in Loop: Header=BB2_245 Depth=1
	s_mov_b64 s[14:15], s[2:3]
	s_mov_b32 s18, 0
	s_cbranch_execz .LBB2_265
	s_branch .LBB2_266
.LBB2_264:                              ;   in Loop: Header=BB2_245 Depth=1
	s_add_nc_u64 s[14:15], s[2:3], 8
	s_mov_b32 s18, 0
.LBB2_265:                              ;   in Loop: Header=BB2_245 Depth=1
	global_load_b64 v[12:13], v7, s[2:3]
	s_add_co_i32 s18, s19, -8
.LBB2_266:                              ;   in Loop: Header=BB2_245 Depth=1
	s_wait_alu 0xfffe
	s_cmp_gt_u32 s18, 7
	s_cbranch_scc1 .LBB2_271
; %bb.267:                              ;   in Loop: Header=BB2_245 Depth=1
	v_mov_b32_e32 v14, 0
	v_mov_b32_e32 v15, 0
	s_cmp_eq_u32 s18, 0
	s_cbranch_scc1 .LBB2_270
; %bb.268:                              ;   in Loop: Header=BB2_245 Depth=1
	s_mov_b64 s[2:3], 0
	s_mov_b64 s[16:17], 0
.LBB2_269:                              ;   Parent Loop BB2_245 Depth=1
                                        ; =>  This Inner Loop Header: Depth=2
	s_wait_alu 0xfffe
	s_add_nc_u64 s[24:25], s[14:15], s[16:17]
	s_add_nc_u64 s[16:17], s[16:17], 1
	global_load_u8 v6, v7, s[24:25]
	s_wait_alu 0xfffe
	s_cmp_lg_u32 s18, s16
	s_wait_loadcnt 0x0
	v_and_b32_e32 v6, 0xffff, v6
	s_delay_alu instid0(VALU_DEP_1) | instskip(SKIP_1) | instid1(VALU_DEP_1)
	v_lshlrev_b64_e32 v[16:17], s2, v[6:7]
	s_add_nc_u64 s[2:3], s[2:3], 8
	v_or_b32_e32 v14, v16, v14
	s_delay_alu instid0(VALU_DEP_2)
	v_or_b32_e32 v15, v17, v15
	s_cbranch_scc1 .LBB2_269
.LBB2_270:                              ;   in Loop: Header=BB2_245 Depth=1
	s_mov_b64 s[2:3], s[14:15]
	s_mov_b32 s19, 0
	s_cbranch_execz .LBB2_272
	s_branch .LBB2_273
.LBB2_271:                              ;   in Loop: Header=BB2_245 Depth=1
	s_add_nc_u64 s[2:3], s[14:15], 8
                                        ; implicit-def: $vgpr14_vgpr15
	s_mov_b32 s19, 0
.LBB2_272:                              ;   in Loop: Header=BB2_245 Depth=1
	global_load_b64 v[14:15], v7, s[14:15]
	s_add_co_i32 s19, s18, -8
.LBB2_273:                              ;   in Loop: Header=BB2_245 Depth=1
	s_wait_alu 0xfffe
	s_cmp_gt_u32 s19, 7
	s_cbranch_scc1 .LBB2_278
; %bb.274:                              ;   in Loop: Header=BB2_245 Depth=1
	v_mov_b32_e32 v16, 0
	v_mov_b32_e32 v17, 0
	s_cmp_eq_u32 s19, 0
	s_cbranch_scc1 .LBB2_277
; %bb.275:                              ;   in Loop: Header=BB2_245 Depth=1
	s_mov_b64 s[14:15], 0
	s_mov_b64 s[16:17], 0
.LBB2_276:                              ;   Parent Loop BB2_245 Depth=1
                                        ; =>  This Inner Loop Header: Depth=2
	s_wait_alu 0xfffe
	s_add_nc_u64 s[24:25], s[2:3], s[16:17]
	s_add_nc_u64 s[16:17], s[16:17], 1
	global_load_u8 v6, v7, s[24:25]
	s_wait_alu 0xfffe
	s_cmp_lg_u32 s19, s16
	s_wait_loadcnt 0x0
	v_and_b32_e32 v6, 0xffff, v6
	s_delay_alu instid0(VALU_DEP_1) | instskip(SKIP_1) | instid1(VALU_DEP_1)
	v_lshlrev_b64_e32 v[18:19], s14, v[6:7]
	s_add_nc_u64 s[14:15], s[14:15], 8
	v_or_b32_e32 v16, v18, v16
	s_delay_alu instid0(VALU_DEP_2)
	v_or_b32_e32 v17, v19, v17
	s_cbranch_scc1 .LBB2_276
.LBB2_277:                              ;   in Loop: Header=BB2_245 Depth=1
	s_mov_b64 s[14:15], s[2:3]
	s_mov_b32 s18, 0
	s_cbranch_execz .LBB2_279
	s_branch .LBB2_280
.LBB2_278:                              ;   in Loop: Header=BB2_245 Depth=1
	s_add_nc_u64 s[14:15], s[2:3], 8
	s_mov_b32 s18, 0
.LBB2_279:                              ;   in Loop: Header=BB2_245 Depth=1
	global_load_b64 v[16:17], v7, s[2:3]
	s_add_co_i32 s18, s19, -8
.LBB2_280:                              ;   in Loop: Header=BB2_245 Depth=1
	s_wait_alu 0xfffe
	s_cmp_gt_u32 s18, 7
	s_cbranch_scc1 .LBB2_285
; %bb.281:                              ;   in Loop: Header=BB2_245 Depth=1
	v_mov_b32_e32 v18, 0
	v_mov_b32_e32 v19, 0
	s_cmp_eq_u32 s18, 0
	s_cbranch_scc1 .LBB2_284
; %bb.282:                              ;   in Loop: Header=BB2_245 Depth=1
	s_mov_b64 s[2:3], 0
	s_mov_b64 s[16:17], 0
.LBB2_283:                              ;   Parent Loop BB2_245 Depth=1
                                        ; =>  This Inner Loop Header: Depth=2
	s_wait_alu 0xfffe
	s_add_nc_u64 s[24:25], s[14:15], s[16:17]
	s_add_nc_u64 s[16:17], s[16:17], 1
	global_load_u8 v6, v7, s[24:25]
	s_wait_alu 0xfffe
	s_cmp_lg_u32 s18, s16
	s_wait_loadcnt 0x0
	v_and_b32_e32 v6, 0xffff, v6
	s_delay_alu instid0(VALU_DEP_1) | instskip(SKIP_1) | instid1(VALU_DEP_1)
	v_lshlrev_b64_e32 v[20:21], s2, v[6:7]
	s_add_nc_u64 s[2:3], s[2:3], 8
	v_or_b32_e32 v18, v20, v18
	s_delay_alu instid0(VALU_DEP_2)
	v_or_b32_e32 v19, v21, v19
	s_cbranch_scc1 .LBB2_283
.LBB2_284:                              ;   in Loop: Header=BB2_245 Depth=1
	s_mov_b64 s[2:3], s[14:15]
	s_mov_b32 s19, 0
	s_cbranch_execz .LBB2_286
	s_branch .LBB2_287
.LBB2_285:                              ;   in Loop: Header=BB2_245 Depth=1
	s_add_nc_u64 s[2:3], s[14:15], 8
                                        ; implicit-def: $vgpr18_vgpr19
	s_mov_b32 s19, 0
.LBB2_286:                              ;   in Loop: Header=BB2_245 Depth=1
	global_load_b64 v[18:19], v7, s[14:15]
	s_add_co_i32 s19, s18, -8
.LBB2_287:                              ;   in Loop: Header=BB2_245 Depth=1
	s_wait_alu 0xfffe
	s_cmp_gt_u32 s19, 7
	s_cbranch_scc1 .LBB2_292
; %bb.288:                              ;   in Loop: Header=BB2_245 Depth=1
	v_mov_b32_e32 v20, 0
	v_mov_b32_e32 v21, 0
	s_cmp_eq_u32 s19, 0
	s_cbranch_scc1 .LBB2_291
; %bb.289:                              ;   in Loop: Header=BB2_245 Depth=1
	s_mov_b64 s[14:15], 0
	s_mov_b64 s[16:17], s[2:3]
.LBB2_290:                              ;   Parent Loop BB2_245 Depth=1
                                        ; =>  This Inner Loop Header: Depth=2
	global_load_u8 v6, v7, s[16:17]
	s_add_co_i32 s19, s19, -1
	s_wait_alu 0xfffe
	s_add_nc_u64 s[16:17], s[16:17], 1
	s_cmp_lg_u32 s19, 0
	s_wait_loadcnt 0x0
	v_and_b32_e32 v6, 0xffff, v6
	s_delay_alu instid0(VALU_DEP_1) | instskip(SKIP_1) | instid1(VALU_DEP_1)
	v_lshlrev_b64_e32 v[22:23], s14, v[6:7]
	s_add_nc_u64 s[14:15], s[14:15], 8
	v_or_b32_e32 v20, v22, v20
	s_delay_alu instid0(VALU_DEP_2)
	v_or_b32_e32 v21, v23, v21
	s_cbranch_scc1 .LBB2_290
.LBB2_291:                              ;   in Loop: Header=BB2_245 Depth=1
	s_cbranch_execz .LBB2_293
	s_branch .LBB2_294
.LBB2_292:                              ;   in Loop: Header=BB2_245 Depth=1
.LBB2_293:                              ;   in Loop: Header=BB2_245 Depth=1
	global_load_b64 v[20:21], v7, s[2:3]
.LBB2_294:                              ;   in Loop: Header=BB2_245 Depth=1
	v_readfirstlane_b32 s2, v32
	v_mov_b32_e32 v26, 0
	v_mov_b32_e32 v27, 0
	s_wait_alu 0xf1ff
	s_delay_alu instid0(VALU_DEP_3)
	v_cmp_eq_u32_e64 s2, s2, v32
	s_and_saveexec_b32 s3, s2
	s_cbranch_execz .LBB2_300
; %bb.295:                              ;   in Loop: Header=BB2_245 Depth=1
	global_load_b64 v[24:25], v7, s[6:7] offset:24 scope:SCOPE_SYS
	s_wait_loadcnt 0x0
	global_inv scope:SCOPE_SYS
	s_clause 0x1
	global_load_b64 v[22:23], v7, s[6:7] offset:40
	global_load_b64 v[26:27], v7, s[6:7]
	s_mov_b32 s14, exec_lo
	s_wait_loadcnt 0x1
	v_and_b32_e32 v6, v23, v25
	v_and_b32_e32 v22, v22, v24
	s_delay_alu instid0(VALU_DEP_2) | instskip(NEXT) | instid1(VALU_DEP_2)
	v_mul_lo_u32 v6, 24, v6
	v_mul_lo_u32 v23, 0, v22
	v_mul_hi_u32 v30, 24, v22
	v_mul_lo_u32 v22, 24, v22
	s_delay_alu instid0(VALU_DEP_3) | instskip(SKIP_1) | instid1(VALU_DEP_2)
	v_add_nc_u32_e32 v6, v6, v23
	s_wait_loadcnt 0x0
	v_add_co_u32 v22, vcc_lo, v26, v22
	s_delay_alu instid0(VALU_DEP_2) | instskip(SKIP_1) | instid1(VALU_DEP_1)
	v_add_nc_u32_e32 v6, v6, v30
	s_wait_alu 0xfffd
	v_add_co_ci_u32_e64 v23, null, v27, v6, vcc_lo
	global_load_b64 v[22:23], v[22:23], off scope:SCOPE_SYS
	s_wait_loadcnt 0x0
	global_atomic_cmpswap_b64 v[26:27], v7, v[22:25], s[6:7] offset:24 th:TH_ATOMIC_RETURN scope:SCOPE_SYS
	s_wait_loadcnt 0x0
	global_inv scope:SCOPE_SYS
	v_cmpx_ne_u64_e64 v[26:27], v[24:25]
	s_cbranch_execz .LBB2_299
; %bb.296:                              ;   in Loop: Header=BB2_245 Depth=1
	s_mov_b32 s15, 0
.LBB2_297:                              ;   Parent Loop BB2_245 Depth=1
                                        ; =>  This Inner Loop Header: Depth=2
	s_sleep 1
	s_clause 0x1
	global_load_b64 v[22:23], v7, s[6:7] offset:40
	global_load_b64 v[30:31], v7, s[6:7]
	v_dual_mov_b32 v24, v26 :: v_dual_mov_b32 v25, v27
	s_wait_loadcnt 0x1
	s_delay_alu instid0(VALU_DEP_1) | instskip(NEXT) | instid1(VALU_DEP_2)
	v_and_b32_e32 v6, v22, v24
	v_and_b32_e32 v22, v23, v25
	s_wait_loadcnt 0x0
	s_delay_alu instid0(VALU_DEP_2) | instskip(NEXT) | instid1(VALU_DEP_1)
	v_mad_co_u64_u32 v[26:27], null, v6, 24, v[30:31]
	v_mov_b32_e32 v6, v27
	s_delay_alu instid0(VALU_DEP_1) | instskip(NEXT) | instid1(VALU_DEP_1)
	v_mad_co_u64_u32 v[22:23], null, v22, 24, v[6:7]
	v_mov_b32_e32 v27, v22
	global_load_b64 v[22:23], v[26:27], off scope:SCOPE_SYS
	s_wait_loadcnt 0x0
	global_atomic_cmpswap_b64 v[26:27], v7, v[22:25], s[6:7] offset:24 th:TH_ATOMIC_RETURN scope:SCOPE_SYS
	s_wait_loadcnt 0x0
	global_inv scope:SCOPE_SYS
	v_cmp_eq_u64_e32 vcc_lo, v[26:27], v[24:25]
	s_wait_alu 0xfffe
	s_or_b32 s15, vcc_lo, s15
	s_wait_alu 0xfffe
	s_and_not1_b32 exec_lo, exec_lo, s15
	s_cbranch_execnz .LBB2_297
; %bb.298:                              ;   in Loop: Header=BB2_245 Depth=1
	s_or_b32 exec_lo, exec_lo, s15
.LBB2_299:                              ;   in Loop: Header=BB2_245 Depth=1
	s_wait_alu 0xfffe
	s_or_b32 exec_lo, exec_lo, s14
.LBB2_300:                              ;   in Loop: Header=BB2_245 Depth=1
	s_wait_alu 0xfffe
	s_or_b32 exec_lo, exec_lo, s3
	s_clause 0x1
	global_load_b64 v[30:31], v7, s[6:7] offset:40
	global_load_b128 v[22:25], v7, s[6:7]
	v_readfirstlane_b32 s15, v27
	v_readfirstlane_b32 s14, v26
	s_mov_b32 s3, exec_lo
	s_wait_loadcnt 0x1
	s_wait_alu 0xf1ff
	v_and_b32_e32 v31, s15, v31
	v_and_b32_e32 v30, s14, v30
	s_delay_alu instid0(VALU_DEP_2) | instskip(NEXT) | instid1(VALU_DEP_2)
	v_mul_lo_u32 v6, 24, v31
	v_mul_lo_u32 v26, 0, v30
	v_mul_hi_u32 v27, 24, v30
	v_mul_lo_u32 v34, 24, v30
	s_delay_alu instid0(VALU_DEP_3) | instskip(SKIP_1) | instid1(VALU_DEP_2)
	v_add_nc_u32_e32 v6, v6, v26
	s_wait_loadcnt 0x0
	v_add_co_u32 v26, vcc_lo, v22, v34
	s_delay_alu instid0(VALU_DEP_2) | instskip(SKIP_1) | instid1(VALU_DEP_1)
	v_add_nc_u32_e32 v6, v6, v27
	s_wait_alu 0xfffd
	v_add_co_ci_u32_e64 v27, null, v23, v6, vcc_lo
	s_and_saveexec_b32 s16, s2
	s_cbranch_execz .LBB2_302
; %bb.301:                              ;   in Loop: Header=BB2_245 Depth=1
	s_wait_alu 0xfffe
	v_mov_b32_e32 v6, s3
	global_store_b128 v[26:27], v[6:9], off offset:8
.LBB2_302:                              ;   in Loop: Header=BB2_245 Depth=1
	s_wait_alu 0xfffe
	s_or_b32 exec_lo, exec_lo, s16
	v_cmp_lt_u64_e64 vcc_lo, s[10:11], 57
	v_lshlrev_b64_e32 v[30:31], 12, v[30:31]
	v_and_b32_e32 v2, 0xffffff1f, v2
	s_lshl_b32 s3, s12, 2
	s_wait_alu 0xfffe
	s_add_co_i32 s3, s3, 28
	s_wait_alu 0xfffd
	v_cndmask_b32_e32 v6, 0, v33, vcc_lo
	v_add_co_u32 v24, vcc_lo, v24, v30
	s_wait_alu 0xfffd
	v_add_co_ci_u32_e64 v25, null, v25, v31, vcc_lo
	s_delay_alu instid0(VALU_DEP_3) | instskip(NEXT) | instid1(VALU_DEP_3)
	v_or_b32_e32 v2, v2, v6
	v_readfirstlane_b32 s16, v24
	s_delay_alu instid0(VALU_DEP_3) | instskip(SKIP_1) | instid1(VALU_DEP_3)
	v_readfirstlane_b32 s17, v25
	s_wait_alu 0xfffe
	v_and_or_b32 v2, 0x1e0, s3, v2
	s_clause 0x3
	global_store_b128 v28, v[2:5], s[16:17]
	global_store_b128 v28, v[10:13], s[16:17] offset:16
	global_store_b128 v28, v[14:17], s[16:17] offset:32
	;; [unrolled: 1-line block ×3, first 2 shown]
	s_and_saveexec_b32 s3, s2
	s_cbranch_execz .LBB2_310
; %bb.303:                              ;   in Loop: Header=BB2_245 Depth=1
	s_clause 0x1
	global_load_b64 v[14:15], v7, s[6:7] offset:32 scope:SCOPE_SYS
	global_load_b64 v[2:3], v7, s[6:7] offset:40
	s_mov_b32 s16, exec_lo
	v_dual_mov_b32 v12, s14 :: v_dual_mov_b32 v13, s15
	s_wait_loadcnt 0x0
	v_and_b32_e32 v2, s14, v2
	v_and_b32_e32 v3, s15, v3
	s_delay_alu instid0(VALU_DEP_2) | instskip(NEXT) | instid1(VALU_DEP_2)
	v_mul_lo_u32 v4, 0, v2
	v_mul_lo_u32 v3, 24, v3
	v_mul_hi_u32 v5, 24, v2
	v_mul_lo_u32 v2, 24, v2
	s_delay_alu instid0(VALU_DEP_3) | instskip(NEXT) | instid1(VALU_DEP_2)
	v_add_nc_u32_e32 v3, v3, v4
	v_add_co_u32 v10, vcc_lo, v22, v2
	s_delay_alu instid0(VALU_DEP_2) | instskip(SKIP_1) | instid1(VALU_DEP_1)
	v_add_nc_u32_e32 v3, v3, v5
	s_wait_alu 0xfffd
	v_add_co_ci_u32_e64 v11, null, v23, v3, vcc_lo
	global_store_b64 v[10:11], v[14:15], off
	global_wb scope:SCOPE_SYS
	s_wait_storecnt 0x0
	global_atomic_cmpswap_b64 v[4:5], v7, v[12:15], s[6:7] offset:32 th:TH_ATOMIC_RETURN scope:SCOPE_SYS
	s_wait_loadcnt 0x0
	v_cmpx_ne_u64_e64 v[4:5], v[14:15]
	s_cbranch_execz .LBB2_306
; %bb.304:                              ;   in Loop: Header=BB2_245 Depth=1
	s_mov_b32 s17, 0
.LBB2_305:                              ;   Parent Loop BB2_245 Depth=1
                                        ; =>  This Inner Loop Header: Depth=2
	v_dual_mov_b32 v2, s14 :: v_dual_mov_b32 v3, s15
	s_sleep 1
	global_store_b64 v[10:11], v[4:5], off
	global_wb scope:SCOPE_SYS
	s_wait_storecnt 0x0
	global_atomic_cmpswap_b64 v[2:3], v7, v[2:5], s[6:7] offset:32 th:TH_ATOMIC_RETURN scope:SCOPE_SYS
	s_wait_loadcnt 0x0
	v_cmp_eq_u64_e32 vcc_lo, v[2:3], v[4:5]
	v_dual_mov_b32 v5, v3 :: v_dual_mov_b32 v4, v2
	s_wait_alu 0xfffe
	s_or_b32 s17, vcc_lo, s17
	s_wait_alu 0xfffe
	s_and_not1_b32 exec_lo, exec_lo, s17
	s_cbranch_execnz .LBB2_305
.LBB2_306:                              ;   in Loop: Header=BB2_245 Depth=1
	s_wait_alu 0xfffe
	s_or_b32 exec_lo, exec_lo, s16
	global_load_b64 v[2:3], v7, s[6:7] offset:16
	s_mov_b32 s17, exec_lo
	s_mov_b32 s16, exec_lo
	s_wait_alu 0xfffe
	v_mbcnt_lo_u32_b32 v4, s17, 0
	s_delay_alu instid0(VALU_DEP_1)
	v_cmpx_eq_u32_e32 0, v4
	s_cbranch_execz .LBB2_308
; %bb.307:                              ;   in Loop: Header=BB2_245 Depth=1
	s_bcnt1_i32_b32 s17, s17
	s_wait_alu 0xfffe
	v_mov_b32_e32 v6, s17
	global_wb scope:SCOPE_SYS
	s_wait_loadcnt 0x0
	s_wait_storecnt 0x0
	global_atomic_add_u64 v[2:3], v[6:7], off offset:8 scope:SCOPE_SYS
.LBB2_308:                              ;   in Loop: Header=BB2_245 Depth=1
	s_or_b32 exec_lo, exec_lo, s16
	s_wait_loadcnt 0x0
	global_load_b64 v[4:5], v[2:3], off offset:16
	s_wait_loadcnt 0x0
	v_cmp_eq_u64_e32 vcc_lo, 0, v[4:5]
	s_cbranch_vccnz .LBB2_310
; %bb.309:                              ;   in Loop: Header=BB2_245 Depth=1
	global_load_b32 v6, v[2:3], off offset:24
	s_wait_loadcnt 0x0
	v_readfirstlane_b32 s16, v6
	global_wb scope:SCOPE_SYS
	s_wait_storecnt 0x0
	global_store_b64 v[4:5], v[6:7], off scope:SCOPE_SYS
	s_and_b32 m0, s16, 0xffffff
	s_sendmsg sendmsg(MSG_INTERRUPT)
.LBB2_310:                              ;   in Loop: Header=BB2_245 Depth=1
	s_wait_alu 0xfffe
	s_or_b32 exec_lo, exec_lo, s3
	v_add_co_u32 v2, vcc_lo, v24, v28
	s_wait_alu 0xfffd
	v_add_co_ci_u32_e64 v3, null, 0, v25, vcc_lo
	s_branch .LBB2_314
.LBB2_311:                              ;   in Loop: Header=BB2_314 Depth=2
	s_wait_alu 0xfffe
	s_or_b32 exec_lo, exec_lo, s3
	s_delay_alu instid0(VALU_DEP_1)
	v_readfirstlane_b32 s3, v4
	s_cmp_eq_u32 s3, 0
	s_cbranch_scc1 .LBB2_313
; %bb.312:                              ;   in Loop: Header=BB2_314 Depth=2
	s_sleep 1
	s_cbranch_execnz .LBB2_314
	s_branch .LBB2_316
.LBB2_313:                              ;   in Loop: Header=BB2_245 Depth=1
	s_branch .LBB2_316
.LBB2_314:                              ;   Parent Loop BB2_245 Depth=1
                                        ; =>  This Inner Loop Header: Depth=2
	v_mov_b32_e32 v4, 1
	s_and_saveexec_b32 s3, s2
	s_cbranch_execz .LBB2_311
; %bb.315:                              ;   in Loop: Header=BB2_314 Depth=2
	global_load_b32 v4, v[26:27], off offset:20 scope:SCOPE_SYS
	s_wait_loadcnt 0x0
	global_inv scope:SCOPE_SYS
	v_and_b32_e32 v4, 1, v4
	s_branch .LBB2_311
.LBB2_316:                              ;   in Loop: Header=BB2_245 Depth=1
	global_load_b64 v[2:3], v[2:3], off
	s_and_saveexec_b32 s16, s2
	s_cbranch_execz .LBB2_244
; %bb.317:                              ;   in Loop: Header=BB2_245 Depth=1
	s_clause 0x2
	global_load_b64 v[4:5], v7, s[6:7] offset:40
	global_load_b64 v[14:15], v7, s[6:7] offset:24 scope:SCOPE_SYS
	global_load_b64 v[10:11], v7, s[6:7]
	s_wait_loadcnt 0x2
	v_readfirstlane_b32 s18, v4
	v_readfirstlane_b32 s19, v5
	s_add_nc_u64 s[2:3], s[18:19], 1
	s_wait_alu 0xfffe
	s_add_nc_u64 s[14:15], s[2:3], s[14:15]
	s_wait_alu 0xfffe
	s_cmp_eq_u64 s[14:15], 0
	s_cselect_b32 s3, s3, s15
	s_cselect_b32 s2, s2, s14
	s_wait_alu 0xfffe
	v_dual_mov_b32 v13, s3 :: v_dual_mov_b32 v12, s2
	s_and_b64 s[14:15], s[2:3], s[18:19]
	s_wait_alu 0xfffe
	s_mul_u64 s[14:15], s[14:15], 24
	s_wait_loadcnt 0x0
	s_wait_alu 0xfffe
	v_add_co_u32 v4, vcc_lo, v10, s14
	s_wait_alu 0xfffd
	v_add_co_ci_u32_e64 v5, null, s15, v11, vcc_lo
	global_store_b64 v[4:5], v[14:15], off
	global_wb scope:SCOPE_SYS
	s_wait_storecnt 0x0
	global_atomic_cmpswap_b64 v[12:13], v7, v[12:15], s[6:7] offset:24 th:TH_ATOMIC_RETURN scope:SCOPE_SYS
	s_wait_loadcnt 0x0
	v_cmp_ne_u64_e32 vcc_lo, v[12:13], v[14:15]
	s_and_b32 exec_lo, exec_lo, vcc_lo
	s_cbranch_execz .LBB2_244
; %bb.318:                              ;   in Loop: Header=BB2_245 Depth=1
	s_mov_b32 s14, 0
.LBB2_319:                              ;   Parent Loop BB2_245 Depth=1
                                        ; =>  This Inner Loop Header: Depth=2
	v_dual_mov_b32 v10, s2 :: v_dual_mov_b32 v11, s3
	s_sleep 1
	global_store_b64 v[4:5], v[12:13], off
	global_wb scope:SCOPE_SYS
	s_wait_storecnt 0x0
	global_atomic_cmpswap_b64 v[10:11], v7, v[10:13], s[6:7] offset:24 th:TH_ATOMIC_RETURN scope:SCOPE_SYS
	s_wait_loadcnt 0x0
	v_cmp_eq_u64_e32 vcc_lo, v[10:11], v[12:13]
	v_dual_mov_b32 v13, v11 :: v_dual_mov_b32 v12, v10
	s_wait_alu 0xfffe
	s_or_b32 s14, vcc_lo, s14
	s_wait_alu 0xfffe
	s_and_not1_b32 exec_lo, exec_lo, s14
	s_cbranch_execnz .LBB2_319
	s_branch .LBB2_244
.LBB2_320:
	s_branch .LBB2_349
.LBB2_321:
                                        ; implicit-def: $vgpr2_vgpr3
	s_cbranch_execz .LBB2_349
; %bb.322:
	v_readfirstlane_b32 s2, v32
	v_mov_b32_e32 v8, 0
	v_mov_b32_e32 v9, 0
	s_wait_alu 0xf1ff
	s_delay_alu instid0(VALU_DEP_3)
	v_cmp_eq_u32_e64 s2, s2, v32
	s_and_saveexec_b32 s3, s2
	s_cbranch_execz .LBB2_328
; %bb.323:
	s_wait_loadcnt 0x0
	v_mov_b32_e32 v2, 0
	s_mov_b32 s8, exec_lo
	global_load_b64 v[5:6], v2, s[6:7] offset:24 scope:SCOPE_SYS
	s_wait_loadcnt 0x0
	global_inv scope:SCOPE_SYS
	s_clause 0x1
	global_load_b64 v[3:4], v2, s[6:7] offset:40
	global_load_b64 v[7:8], v2, s[6:7]
	s_wait_loadcnt 0x1
	v_and_b32_e32 v4, v4, v6
	v_and_b32_e32 v3, v3, v5
	s_delay_alu instid0(VALU_DEP_2) | instskip(NEXT) | instid1(VALU_DEP_2)
	v_mul_lo_u32 v4, 24, v4
	v_mul_lo_u32 v9, 0, v3
	v_mul_hi_u32 v10, 24, v3
	v_mul_lo_u32 v3, 24, v3
	s_delay_alu instid0(VALU_DEP_3) | instskip(SKIP_1) | instid1(VALU_DEP_2)
	v_add_nc_u32_e32 v4, v4, v9
	s_wait_loadcnt 0x0
	v_add_co_u32 v3, vcc_lo, v7, v3
	s_delay_alu instid0(VALU_DEP_2) | instskip(SKIP_1) | instid1(VALU_DEP_1)
	v_add_nc_u32_e32 v4, v4, v10
	s_wait_alu 0xfffd
	v_add_co_ci_u32_e64 v4, null, v8, v4, vcc_lo
	global_load_b64 v[3:4], v[3:4], off scope:SCOPE_SYS
	s_wait_loadcnt 0x0
	global_atomic_cmpswap_b64 v[8:9], v2, v[3:6], s[6:7] offset:24 th:TH_ATOMIC_RETURN scope:SCOPE_SYS
	s_wait_loadcnt 0x0
	global_inv scope:SCOPE_SYS
	v_cmpx_ne_u64_e64 v[8:9], v[5:6]
	s_cbranch_execz .LBB2_327
; %bb.324:
	s_mov_b32 s9, 0
.LBB2_325:                              ; =>This Inner Loop Header: Depth=1
	s_sleep 1
	s_clause 0x1
	global_load_b64 v[3:4], v2, s[6:7] offset:40
	global_load_b64 v[10:11], v2, s[6:7]
	v_dual_mov_b32 v5, v8 :: v_dual_mov_b32 v6, v9
	s_wait_loadcnt 0x1
	s_delay_alu instid0(VALU_DEP_1) | instskip(NEXT) | instid1(VALU_DEP_2)
	v_and_b32_e32 v3, v3, v5
	v_and_b32_e32 v4, v4, v6
	s_wait_loadcnt 0x0
	s_delay_alu instid0(VALU_DEP_2) | instskip(NEXT) | instid1(VALU_DEP_1)
	v_mad_co_u64_u32 v[7:8], null, v3, 24, v[10:11]
	v_mov_b32_e32 v3, v8
	s_delay_alu instid0(VALU_DEP_1) | instskip(NEXT) | instid1(VALU_DEP_1)
	v_mad_co_u64_u32 v[3:4], null, v4, 24, v[3:4]
	v_mov_b32_e32 v8, v3
	global_load_b64 v[3:4], v[7:8], off scope:SCOPE_SYS
	s_wait_loadcnt 0x0
	global_atomic_cmpswap_b64 v[8:9], v2, v[3:6], s[6:7] offset:24 th:TH_ATOMIC_RETURN scope:SCOPE_SYS
	s_wait_loadcnt 0x0
	global_inv scope:SCOPE_SYS
	v_cmp_eq_u64_e32 vcc_lo, v[8:9], v[5:6]
	s_wait_alu 0xfffe
	s_or_b32 s9, vcc_lo, s9
	s_wait_alu 0xfffe
	s_and_not1_b32 exec_lo, exec_lo, s9
	s_cbranch_execnz .LBB2_325
; %bb.326:
	s_or_b32 exec_lo, exec_lo, s9
.LBB2_327:
	s_wait_alu 0xfffe
	s_or_b32 exec_lo, exec_lo, s8
.LBB2_328:
	s_wait_alu 0xfffe
	s_or_b32 exec_lo, exec_lo, s3
	v_readfirstlane_b32 s9, v9
	s_wait_loadcnt 0x0
	v_mov_b32_e32 v2, 0
	v_readfirstlane_b32 s8, v8
	s_mov_b32 s3, exec_lo
	s_clause 0x1
	global_load_b64 v[10:11], v2, s[6:7] offset:40
	global_load_b128 v[4:7], v2, s[6:7]
	s_wait_loadcnt 0x1
	s_wait_alu 0xf1ff
	v_and_b32_e32 v11, s9, v11
	v_and_b32_e32 v10, s8, v10
	s_delay_alu instid0(VALU_DEP_2) | instskip(NEXT) | instid1(VALU_DEP_2)
	v_mul_lo_u32 v3, 24, v11
	v_mul_lo_u32 v8, 0, v10
	v_mul_hi_u32 v9, 24, v10
	v_mul_lo_u32 v12, 24, v10
	s_delay_alu instid0(VALU_DEP_3) | instskip(SKIP_1) | instid1(VALU_DEP_2)
	v_add_nc_u32_e32 v3, v3, v8
	s_wait_loadcnt 0x0
	v_add_co_u32 v8, vcc_lo, v4, v12
	s_delay_alu instid0(VALU_DEP_2) | instskip(SKIP_1) | instid1(VALU_DEP_1)
	v_add_nc_u32_e32 v3, v3, v9
	s_wait_alu 0xfffd
	v_add_co_ci_u32_e64 v9, null, v5, v3, vcc_lo
	s_and_saveexec_b32 s10, s2
	s_cbranch_execz .LBB2_330
; %bb.329:
	s_wait_alu 0xfffe
	v_dual_mov_b32 v12, s3 :: v_dual_mov_b32 v13, v2
	v_dual_mov_b32 v14, 2 :: v_dual_mov_b32 v15, 1
	global_store_b128 v[8:9], v[12:15], off offset:8
.LBB2_330:
	s_wait_alu 0xfffe
	s_or_b32 exec_lo, exec_lo, s10
	v_lshlrev_b64_e32 v[10:11], 12, v[10:11]
	s_mov_b32 s12, 0
	v_and_or_b32 v0, 0xffffff1f, v0, 32
	s_wait_alu 0xfffe
	s_mov_b32 s13, s12
	s_mov_b32 s14, s12
	;; [unrolled: 1-line block ×3, first 2 shown]
	v_add_co_u32 v6, vcc_lo, v6, v10
	s_wait_alu 0xfffd
	v_add_co_ci_u32_e64 v7, null, v7, v11, vcc_lo
	v_dual_mov_b32 v3, v2 :: v_dual_mov_b32 v10, s12
	s_delay_alu instid0(VALU_DEP_3) | instskip(SKIP_1) | instid1(VALU_DEP_4)
	v_readfirstlane_b32 s10, v6
	v_add_co_u32 v6, vcc_lo, v6, v28
	v_readfirstlane_b32 s11, v7
	s_wait_alu 0xfffd
	v_add_co_ci_u32_e64 v7, null, 0, v7, vcc_lo
	s_wait_alu 0xfffe
	v_dual_mov_b32 v11, s13 :: v_dual_mov_b32 v12, s14
	v_mov_b32_e32 v13, s15
	s_clause 0x3
	global_store_b128 v28, v[0:3], s[10:11]
	global_store_b128 v28, v[10:13], s[10:11] offset:16
	global_store_b128 v28, v[10:13], s[10:11] offset:32
	;; [unrolled: 1-line block ×3, first 2 shown]
	s_and_saveexec_b32 s3, s2
	s_cbranch_execz .LBB2_338
; %bb.331:
	v_mov_b32_e32 v10, 0
	s_mov_b32 s10, exec_lo
	s_clause 0x1
	global_load_b64 v[13:14], v10, s[6:7] offset:32 scope:SCOPE_SYS
	global_load_b64 v[0:1], v10, s[6:7] offset:40
	v_dual_mov_b32 v11, s8 :: v_dual_mov_b32 v12, s9
	s_wait_loadcnt 0x0
	v_and_b32_e32 v1, s9, v1
	v_and_b32_e32 v0, s8, v0
	s_delay_alu instid0(VALU_DEP_2) | instskip(NEXT) | instid1(VALU_DEP_2)
	v_mul_lo_u32 v1, 24, v1
	v_mul_lo_u32 v2, 0, v0
	v_mul_hi_u32 v3, 24, v0
	v_mul_lo_u32 v0, 24, v0
	s_delay_alu instid0(VALU_DEP_3) | instskip(NEXT) | instid1(VALU_DEP_2)
	v_add_nc_u32_e32 v1, v1, v2
	v_add_co_u32 v4, vcc_lo, v4, v0
	s_delay_alu instid0(VALU_DEP_2) | instskip(SKIP_1) | instid1(VALU_DEP_1)
	v_add_nc_u32_e32 v1, v1, v3
	s_wait_alu 0xfffd
	v_add_co_ci_u32_e64 v5, null, v5, v1, vcc_lo
	global_store_b64 v[4:5], v[13:14], off
	global_wb scope:SCOPE_SYS
	s_wait_storecnt 0x0
	global_atomic_cmpswap_b64 v[2:3], v10, v[11:14], s[6:7] offset:32 th:TH_ATOMIC_RETURN scope:SCOPE_SYS
	s_wait_loadcnt 0x0
	v_cmpx_ne_u64_e64 v[2:3], v[13:14]
	s_cbranch_execz .LBB2_334
; %bb.332:
	s_mov_b32 s11, 0
.LBB2_333:                              ; =>This Inner Loop Header: Depth=1
	v_dual_mov_b32 v0, s8 :: v_dual_mov_b32 v1, s9
	s_sleep 1
	global_store_b64 v[4:5], v[2:3], off
	global_wb scope:SCOPE_SYS
	s_wait_storecnt 0x0
	global_atomic_cmpswap_b64 v[0:1], v10, v[0:3], s[6:7] offset:32 th:TH_ATOMIC_RETURN scope:SCOPE_SYS
	s_wait_loadcnt 0x0
	v_cmp_eq_u64_e32 vcc_lo, v[0:1], v[2:3]
	v_dual_mov_b32 v3, v1 :: v_dual_mov_b32 v2, v0
	s_wait_alu 0xfffe
	s_or_b32 s11, vcc_lo, s11
	s_wait_alu 0xfffe
	s_and_not1_b32 exec_lo, exec_lo, s11
	s_cbranch_execnz .LBB2_333
.LBB2_334:
	s_wait_alu 0xfffe
	s_or_b32 exec_lo, exec_lo, s10
	v_mov_b32_e32 v3, 0
	s_mov_b32 s11, exec_lo
	s_mov_b32 s10, exec_lo
	s_wait_alu 0xfffe
	v_mbcnt_lo_u32_b32 v2, s11, 0
	global_load_b64 v[0:1], v3, s[6:7] offset:16
	v_cmpx_eq_u32_e32 0, v2
	s_cbranch_execz .LBB2_336
; %bb.335:
	s_bcnt1_i32_b32 s11, s11
	s_wait_alu 0xfffe
	v_mov_b32_e32 v2, s11
	global_wb scope:SCOPE_SYS
	s_wait_loadcnt 0x0
	s_wait_storecnt 0x0
	global_atomic_add_u64 v[0:1], v[2:3], off offset:8 scope:SCOPE_SYS
.LBB2_336:
	s_or_b32 exec_lo, exec_lo, s10
	s_wait_loadcnt 0x0
	global_load_b64 v[2:3], v[0:1], off offset:16
	s_wait_loadcnt 0x0
	v_cmp_eq_u64_e32 vcc_lo, 0, v[2:3]
	s_cbranch_vccnz .LBB2_338
; %bb.337:
	global_load_b32 v0, v[0:1], off offset:24
	v_mov_b32_e32 v1, 0
	s_wait_loadcnt 0x0
	v_readfirstlane_b32 s10, v0
	global_wb scope:SCOPE_SYS
	s_wait_storecnt 0x0
	global_store_b64 v[2:3], v[0:1], off scope:SCOPE_SYS
	s_and_b32 m0, s10, 0xffffff
	s_sendmsg sendmsg(MSG_INTERRUPT)
.LBB2_338:
	s_wait_alu 0xfffe
	s_or_b32 exec_lo, exec_lo, s3
	s_branch .LBB2_342
.LBB2_339:                              ;   in Loop: Header=BB2_342 Depth=1
	s_wait_alu 0xfffe
	s_or_b32 exec_lo, exec_lo, s3
	s_delay_alu instid0(VALU_DEP_1)
	v_readfirstlane_b32 s3, v0
	s_cmp_eq_u32 s3, 0
	s_cbranch_scc1 .LBB2_341
; %bb.340:                              ;   in Loop: Header=BB2_342 Depth=1
	s_sleep 1
	s_cbranch_execnz .LBB2_342
	s_branch .LBB2_344
.LBB2_341:
	s_branch .LBB2_344
.LBB2_342:                              ; =>This Inner Loop Header: Depth=1
	v_mov_b32_e32 v0, 1
	s_and_saveexec_b32 s3, s2
	s_cbranch_execz .LBB2_339
; %bb.343:                              ;   in Loop: Header=BB2_342 Depth=1
	global_load_b32 v0, v[8:9], off offset:20 scope:SCOPE_SYS
	s_wait_loadcnt 0x0
	global_inv scope:SCOPE_SYS
	v_and_b32_e32 v0, 1, v0
	s_branch .LBB2_339
.LBB2_344:
	global_load_b64 v[2:3], v[6:7], off
	s_and_saveexec_b32 s10, s2
	s_cbranch_execz .LBB2_348
; %bb.345:
	v_mov_b32_e32 v8, 0
	s_clause 0x2
	global_load_b64 v[0:1], v8, s[6:7] offset:40
	global_load_b64 v[11:12], v8, s[6:7] offset:24 scope:SCOPE_SYS
	global_load_b64 v[4:5], v8, s[6:7]
	s_wait_loadcnt 0x2
	v_readfirstlane_b32 s12, v0
	v_readfirstlane_b32 s13, v1
	s_add_nc_u64 s[2:3], s[12:13], 1
	s_wait_alu 0xfffe
	s_add_nc_u64 s[8:9], s[2:3], s[8:9]
	s_wait_alu 0xfffe
	s_cmp_eq_u64 s[8:9], 0
	s_cselect_b32 s3, s3, s9
	s_cselect_b32 s2, s2, s8
	s_wait_alu 0xfffe
	v_mov_b32_e32 v10, s3
	s_and_b64 s[8:9], s[2:3], s[12:13]
	v_mov_b32_e32 v9, s2
	s_wait_alu 0xfffe
	s_mul_u64 s[8:9], s[8:9], 24
	s_wait_loadcnt 0x0
	s_wait_alu 0xfffe
	v_add_co_u32 v0, vcc_lo, v4, s8
	s_wait_alu 0xfffd
	v_add_co_ci_u32_e64 v1, null, s9, v5, vcc_lo
	global_store_b64 v[0:1], v[11:12], off
	global_wb scope:SCOPE_SYS
	s_wait_storecnt 0x0
	global_atomic_cmpswap_b64 v[6:7], v8, v[9:12], s[6:7] offset:24 th:TH_ATOMIC_RETURN scope:SCOPE_SYS
	s_wait_loadcnt 0x0
	v_cmp_ne_u64_e32 vcc_lo, v[6:7], v[11:12]
	s_and_b32 exec_lo, exec_lo, vcc_lo
	s_cbranch_execz .LBB2_348
; %bb.346:
	s_mov_b32 s8, 0
.LBB2_347:                              ; =>This Inner Loop Header: Depth=1
	v_dual_mov_b32 v4, s2 :: v_dual_mov_b32 v5, s3
	s_sleep 1
	global_store_b64 v[0:1], v[6:7], off
	global_wb scope:SCOPE_SYS
	s_wait_storecnt 0x0
	global_atomic_cmpswap_b64 v[4:5], v8, v[4:7], s[6:7] offset:24 th:TH_ATOMIC_RETURN scope:SCOPE_SYS
	s_wait_loadcnt 0x0
	v_cmp_eq_u64_e32 vcc_lo, v[4:5], v[6:7]
	v_dual_mov_b32 v7, v5 :: v_dual_mov_b32 v6, v4
	s_wait_alu 0xfffe
	s_or_b32 s8, vcc_lo, s8
	s_wait_alu 0xfffe
	s_and_not1_b32 exec_lo, exec_lo, s8
	s_cbranch_execnz .LBB2_347
.LBB2_348:
	s_wait_alu 0xfffe
	s_or_b32 exec_lo, exec_lo, s10
.LBB2_349:
	v_readfirstlane_b32 s2, v32
	s_wait_loadcnt 0x0
	v_mov_b32_e32 v0, 0
	v_mov_b32_e32 v1, 0
	s_wait_alu 0xf1ff
	v_cmp_eq_u32_e64 s2, s2, v32
	s_and_saveexec_b32 s3, s2
	s_cbranch_execz .LBB2_355
; %bb.350:
	v_mov_b32_e32 v4, 0
	s_mov_b32 s8, exec_lo
	global_load_b64 v[7:8], v4, s[6:7] offset:24 scope:SCOPE_SYS
	s_wait_loadcnt 0x0
	global_inv scope:SCOPE_SYS
	s_clause 0x1
	global_load_b64 v[0:1], v4, s[6:7] offset:40
	global_load_b64 v[5:6], v4, s[6:7]
	s_wait_loadcnt 0x1
	v_and_b32_e32 v1, v1, v8
	v_and_b32_e32 v0, v0, v7
	s_delay_alu instid0(VALU_DEP_2) | instskip(NEXT) | instid1(VALU_DEP_2)
	v_mul_lo_u32 v1, 24, v1
	v_mul_lo_u32 v9, 0, v0
	v_mul_hi_u32 v10, 24, v0
	v_mul_lo_u32 v0, 24, v0
	s_delay_alu instid0(VALU_DEP_3) | instskip(SKIP_1) | instid1(VALU_DEP_2)
	v_add_nc_u32_e32 v1, v1, v9
	s_wait_loadcnt 0x0
	v_add_co_u32 v0, vcc_lo, v5, v0
	s_delay_alu instid0(VALU_DEP_2) | instskip(SKIP_1) | instid1(VALU_DEP_1)
	v_add_nc_u32_e32 v1, v1, v10
	s_wait_alu 0xfffd
	v_add_co_ci_u32_e64 v1, null, v6, v1, vcc_lo
	global_load_b64 v[5:6], v[0:1], off scope:SCOPE_SYS
	s_wait_loadcnt 0x0
	global_atomic_cmpswap_b64 v[0:1], v4, v[5:8], s[6:7] offset:24 th:TH_ATOMIC_RETURN scope:SCOPE_SYS
	s_wait_loadcnt 0x0
	global_inv scope:SCOPE_SYS
	v_cmpx_ne_u64_e64 v[0:1], v[7:8]
	s_cbranch_execz .LBB2_354
; %bb.351:
	s_mov_b32 s9, 0
.LBB2_352:                              ; =>This Inner Loop Header: Depth=1
	s_sleep 1
	s_clause 0x1
	global_load_b64 v[5:6], v4, s[6:7] offset:40
	global_load_b64 v[9:10], v4, s[6:7]
	v_dual_mov_b32 v8, v1 :: v_dual_mov_b32 v7, v0
	s_wait_loadcnt 0x1
	s_delay_alu instid0(VALU_DEP_1) | instskip(NEXT) | instid1(VALU_DEP_2)
	v_and_b32_e32 v0, v5, v7
	v_and_b32_e32 v5, v6, v8
	s_wait_loadcnt 0x0
	s_delay_alu instid0(VALU_DEP_2) | instskip(NEXT) | instid1(VALU_DEP_1)
	v_mad_co_u64_u32 v[0:1], null, v0, 24, v[9:10]
	v_mad_co_u64_u32 v[5:6], null, v5, 24, v[1:2]
	s_delay_alu instid0(VALU_DEP_1)
	v_mov_b32_e32 v1, v5
	global_load_b64 v[5:6], v[0:1], off scope:SCOPE_SYS
	s_wait_loadcnt 0x0
	global_atomic_cmpswap_b64 v[0:1], v4, v[5:8], s[6:7] offset:24 th:TH_ATOMIC_RETURN scope:SCOPE_SYS
	s_wait_loadcnt 0x0
	global_inv scope:SCOPE_SYS
	v_cmp_eq_u64_e32 vcc_lo, v[0:1], v[7:8]
	s_wait_alu 0xfffe
	s_or_b32 s9, vcc_lo, s9
	s_wait_alu 0xfffe
	s_and_not1_b32 exec_lo, exec_lo, s9
	s_cbranch_execnz .LBB2_352
; %bb.353:
	s_or_b32 exec_lo, exec_lo, s9
.LBB2_354:
	s_wait_alu 0xfffe
	s_or_b32 exec_lo, exec_lo, s8
.LBB2_355:
	s_wait_alu 0xfffe
	s_or_b32 exec_lo, exec_lo, s3
	v_readfirstlane_b32 s8, v0
	v_mov_b32_e32 v5, 0
	v_readfirstlane_b32 s9, v1
	s_mov_b32 s3, exec_lo
	s_clause 0x1
	global_load_b64 v[10:11], v5, s[6:7] offset:40
	global_load_b128 v[6:9], v5, s[6:7]
	s_wait_loadcnt 0x1
	s_wait_alu 0xf1ff
	v_and_b32_e32 v1, s9, v11
	v_and_b32_e32 v0, s8, v10
	s_delay_alu instid0(VALU_DEP_2) | instskip(NEXT) | instid1(VALU_DEP_2)
	v_mul_lo_u32 v4, 24, v1
	v_mul_lo_u32 v10, 0, v0
	v_mul_hi_u32 v11, 24, v0
	v_mul_lo_u32 v12, 24, v0
	s_delay_alu instid0(VALU_DEP_3) | instskip(SKIP_1) | instid1(VALU_DEP_2)
	v_add_nc_u32_e32 v4, v4, v10
	s_wait_loadcnt 0x0
	v_add_co_u32 v10, vcc_lo, v6, v12
	s_delay_alu instid0(VALU_DEP_2) | instskip(SKIP_1) | instid1(VALU_DEP_1)
	v_add_nc_u32_e32 v4, v4, v11
	s_wait_alu 0xfffd
	v_add_co_ci_u32_e64 v11, null, v7, v4, vcc_lo
	s_and_saveexec_b32 s10, s2
	s_cbranch_execz .LBB2_357
; %bb.356:
	s_wait_alu 0xfffe
	v_dual_mov_b32 v4, s3 :: v_dual_mov_b32 v15, 1
	v_dual_mov_b32 v14, 2 :: v_dual_mov_b32 v13, v5
	s_delay_alu instid0(VALU_DEP_2)
	v_mov_b32_e32 v12, v4
	global_store_b128 v[10:11], v[12:15], off offset:8
.LBB2_357:
	s_wait_alu 0xfffe
	s_or_b32 exec_lo, exec_lo, s10
	v_lshlrev_b64_e32 v[0:1], 12, v[0:1]
	s_mov_b32 s12, 0
	s_lshr_b32 s3, s20, 1
	s_wait_alu 0xfffe
	s_mov_b32 s13, s12
	s_mov_b32 s14, s12
	;; [unrolled: 1-line block ×3, first 2 shown]
	v_add_co_u32 v0, vcc_lo, v8, v0
	s_wait_alu 0xfffd
	v_add_co_ci_u32_e64 v1, null, v9, v1, vcc_lo
	v_and_or_b32 v2, 0xffffff1f, v2, 32
	s_delay_alu instid0(VALU_DEP_3)
	v_add_co_u32 v8, vcc_lo, v0, v28
	v_mov_b32_e32 v4, s3
	v_readfirstlane_b32 s10, v0
	v_readfirstlane_b32 s11, v1
	s_wait_alu 0xfffe
	v_dual_mov_b32 v12, s12 :: v_dual_mov_b32 v15, s15
	s_wait_alu 0xfffd
	v_add_co_ci_u32_e64 v9, null, 0, v1, vcc_lo
	v_dual_mov_b32 v13, s13 :: v_dual_mov_b32 v14, s14
	s_clause 0x3
	global_store_b128 v28, v[2:5], s[10:11]
	global_store_b128 v28, v[12:15], s[10:11] offset:16
	global_store_b128 v28, v[12:15], s[10:11] offset:32
	;; [unrolled: 1-line block ×3, first 2 shown]
	s_and_saveexec_b32 s3, s2
	s_cbranch_execz .LBB2_365
; %bb.358:
	v_mov_b32_e32 v12, 0
	s_mov_b32 s10, exec_lo
	s_clause 0x1
	global_load_b64 v[15:16], v12, s[6:7] offset:32 scope:SCOPE_SYS
	global_load_b64 v[0:1], v12, s[6:7] offset:40
	v_dual_mov_b32 v13, s8 :: v_dual_mov_b32 v14, s9
	s_wait_loadcnt 0x0
	v_and_b32_e32 v1, s9, v1
	v_and_b32_e32 v0, s8, v0
	s_delay_alu instid0(VALU_DEP_2) | instskip(NEXT) | instid1(VALU_DEP_2)
	v_mul_lo_u32 v1, 24, v1
	v_mul_lo_u32 v2, 0, v0
	v_mul_hi_u32 v3, 24, v0
	v_mul_lo_u32 v0, 24, v0
	s_delay_alu instid0(VALU_DEP_3) | instskip(NEXT) | instid1(VALU_DEP_2)
	v_add_nc_u32_e32 v1, v1, v2
	v_add_co_u32 v4, vcc_lo, v6, v0
	s_delay_alu instid0(VALU_DEP_2) | instskip(SKIP_1) | instid1(VALU_DEP_1)
	v_add_nc_u32_e32 v1, v1, v3
	s_wait_alu 0xfffd
	v_add_co_ci_u32_e64 v5, null, v7, v1, vcc_lo
	global_store_b64 v[4:5], v[15:16], off
	global_wb scope:SCOPE_SYS
	s_wait_storecnt 0x0
	global_atomic_cmpswap_b64 v[2:3], v12, v[13:16], s[6:7] offset:32 th:TH_ATOMIC_RETURN scope:SCOPE_SYS
	s_wait_loadcnt 0x0
	v_cmpx_ne_u64_e64 v[2:3], v[15:16]
	s_cbranch_execz .LBB2_361
; %bb.359:
	s_mov_b32 s11, 0
.LBB2_360:                              ; =>This Inner Loop Header: Depth=1
	v_dual_mov_b32 v0, s8 :: v_dual_mov_b32 v1, s9
	s_sleep 1
	global_store_b64 v[4:5], v[2:3], off
	global_wb scope:SCOPE_SYS
	s_wait_storecnt 0x0
	global_atomic_cmpswap_b64 v[0:1], v12, v[0:3], s[6:7] offset:32 th:TH_ATOMIC_RETURN scope:SCOPE_SYS
	s_wait_loadcnt 0x0
	v_cmp_eq_u64_e32 vcc_lo, v[0:1], v[2:3]
	v_dual_mov_b32 v3, v1 :: v_dual_mov_b32 v2, v0
	s_wait_alu 0xfffe
	s_or_b32 s11, vcc_lo, s11
	s_wait_alu 0xfffe
	s_and_not1_b32 exec_lo, exec_lo, s11
	s_cbranch_execnz .LBB2_360
.LBB2_361:
	s_wait_alu 0xfffe
	s_or_b32 exec_lo, exec_lo, s10
	v_mov_b32_e32 v3, 0
	s_mov_b32 s11, exec_lo
	s_mov_b32 s10, exec_lo
	s_wait_alu 0xfffe
	v_mbcnt_lo_u32_b32 v2, s11, 0
	global_load_b64 v[0:1], v3, s[6:7] offset:16
	v_cmpx_eq_u32_e32 0, v2
	s_cbranch_execz .LBB2_363
; %bb.362:
	s_bcnt1_i32_b32 s11, s11
	s_wait_alu 0xfffe
	v_mov_b32_e32 v2, s11
	global_wb scope:SCOPE_SYS
	s_wait_loadcnt 0x0
	s_wait_storecnt 0x0
	global_atomic_add_u64 v[0:1], v[2:3], off offset:8 scope:SCOPE_SYS
.LBB2_363:
	s_or_b32 exec_lo, exec_lo, s10
	s_wait_loadcnt 0x0
	global_load_b64 v[2:3], v[0:1], off offset:16
	s_wait_loadcnt 0x0
	v_cmp_eq_u64_e32 vcc_lo, 0, v[2:3]
	s_cbranch_vccnz .LBB2_365
; %bb.364:
	global_load_b32 v0, v[0:1], off offset:24
	v_mov_b32_e32 v1, 0
	s_wait_loadcnt 0x0
	v_readfirstlane_b32 s10, v0
	global_wb scope:SCOPE_SYS
	s_wait_storecnt 0x0
	global_store_b64 v[2:3], v[0:1], off scope:SCOPE_SYS
	s_and_b32 m0, s10, 0xffffff
	s_sendmsg sendmsg(MSG_INTERRUPT)
.LBB2_365:
	s_wait_alu 0xfffe
	s_or_b32 exec_lo, exec_lo, s3
	s_branch .LBB2_369
.LBB2_366:                              ;   in Loop: Header=BB2_369 Depth=1
	s_wait_alu 0xfffe
	s_or_b32 exec_lo, exec_lo, s3
	s_delay_alu instid0(VALU_DEP_1)
	v_readfirstlane_b32 s3, v0
	s_cmp_eq_u32 s3, 0
	s_cbranch_scc1 .LBB2_368
; %bb.367:                              ;   in Loop: Header=BB2_369 Depth=1
	s_sleep 1
	s_cbranch_execnz .LBB2_369
	s_branch .LBB2_371
.LBB2_368:
	s_branch .LBB2_371
.LBB2_369:                              ; =>This Inner Loop Header: Depth=1
	v_mov_b32_e32 v0, 1
	s_and_saveexec_b32 s3, s2
	s_cbranch_execz .LBB2_366
; %bb.370:                              ;   in Loop: Header=BB2_369 Depth=1
	global_load_b32 v0, v[10:11], off offset:20 scope:SCOPE_SYS
	s_wait_loadcnt 0x0
	global_inv scope:SCOPE_SYS
	v_and_b32_e32 v0, 1, v0
	s_branch .LBB2_366
.LBB2_371:
	global_load_b64 v[0:1], v[8:9], off
	s_and_saveexec_b32 s10, s2
	s_cbranch_execz .LBB2_375
; %bb.372:
	v_mov_b32_e32 v8, 0
	s_clause 0x2
	global_load_b64 v[2:3], v8, s[6:7] offset:40
	global_load_b64 v[11:12], v8, s[6:7] offset:24 scope:SCOPE_SYS
	global_load_b64 v[4:5], v8, s[6:7]
	s_wait_loadcnt 0x2
	v_readfirstlane_b32 s12, v2
	v_readfirstlane_b32 s13, v3
	s_add_nc_u64 s[2:3], s[12:13], 1
	s_wait_alu 0xfffe
	s_add_nc_u64 s[8:9], s[2:3], s[8:9]
	s_wait_alu 0xfffe
	s_cmp_eq_u64 s[8:9], 0
	s_cselect_b32 s3, s3, s9
	s_cselect_b32 s2, s2, s8
	s_wait_alu 0xfffe
	v_mov_b32_e32 v10, s3
	s_and_b64 s[8:9], s[2:3], s[12:13]
	v_mov_b32_e32 v9, s2
	s_wait_alu 0xfffe
	s_mul_u64 s[8:9], s[8:9], 24
	s_wait_loadcnt 0x0
	s_wait_alu 0xfffe
	v_add_co_u32 v6, vcc_lo, v4, s8
	s_wait_alu 0xfffd
	v_add_co_ci_u32_e64 v7, null, s9, v5, vcc_lo
	global_store_b64 v[6:7], v[11:12], off
	global_wb scope:SCOPE_SYS
	s_wait_storecnt 0x0
	global_atomic_cmpswap_b64 v[4:5], v8, v[9:12], s[6:7] offset:24 th:TH_ATOMIC_RETURN scope:SCOPE_SYS
	s_wait_loadcnt 0x0
	v_cmp_ne_u64_e32 vcc_lo, v[4:5], v[11:12]
	s_and_b32 exec_lo, exec_lo, vcc_lo
	s_cbranch_execz .LBB2_375
; %bb.373:
	s_mov_b32 s8, 0
.LBB2_374:                              ; =>This Inner Loop Header: Depth=1
	v_dual_mov_b32 v2, s2 :: v_dual_mov_b32 v3, s3
	s_sleep 1
	global_store_b64 v[6:7], v[4:5], off
	global_wb scope:SCOPE_SYS
	s_wait_storecnt 0x0
	global_atomic_cmpswap_b64 v[2:3], v8, v[2:5], s[6:7] offset:24 th:TH_ATOMIC_RETURN scope:SCOPE_SYS
	s_wait_loadcnt 0x0
	v_cmp_eq_u64_e32 vcc_lo, v[2:3], v[4:5]
	v_dual_mov_b32 v5, v3 :: v_dual_mov_b32 v4, v2
	s_wait_alu 0xfffe
	s_or_b32 s8, vcc_lo, s8
	s_wait_alu 0xfffe
	s_and_not1_b32 exec_lo, exec_lo, s8
	s_cbranch_execnz .LBB2_374
.LBB2_375:
	s_wait_alu 0xfffe
	s_or_b32 exec_lo, exec_lo, s10
	v_readfirstlane_b32 s2, v32
	v_mov_b32_e32 v8, 0
	v_mov_b32_e32 v9, 0
	s_wait_alu 0xf1ff
	s_delay_alu instid0(VALU_DEP_3)
	v_cmp_eq_u32_e64 s2, s2, v32
	s_and_saveexec_b32 s3, s2
	s_cbranch_execz .LBB2_381
; %bb.376:
	v_mov_b32_e32 v2, 0
	s_mov_b32 s8, exec_lo
	global_load_b64 v[5:6], v2, s[6:7] offset:24 scope:SCOPE_SYS
	s_wait_loadcnt 0x0
	global_inv scope:SCOPE_SYS
	s_clause 0x1
	global_load_b64 v[3:4], v2, s[6:7] offset:40
	global_load_b64 v[7:8], v2, s[6:7]
	s_wait_loadcnt 0x1
	v_and_b32_e32 v4, v4, v6
	v_and_b32_e32 v3, v3, v5
	s_delay_alu instid0(VALU_DEP_2) | instskip(NEXT) | instid1(VALU_DEP_2)
	v_mul_lo_u32 v4, 24, v4
	v_mul_lo_u32 v9, 0, v3
	v_mul_hi_u32 v10, 24, v3
	v_mul_lo_u32 v3, 24, v3
	s_delay_alu instid0(VALU_DEP_3) | instskip(SKIP_1) | instid1(VALU_DEP_2)
	v_add_nc_u32_e32 v4, v4, v9
	s_wait_loadcnt 0x0
	v_add_co_u32 v3, vcc_lo, v7, v3
	s_delay_alu instid0(VALU_DEP_2) | instskip(SKIP_1) | instid1(VALU_DEP_1)
	v_add_nc_u32_e32 v4, v4, v10
	s_wait_alu 0xfffd
	v_add_co_ci_u32_e64 v4, null, v8, v4, vcc_lo
	global_load_b64 v[3:4], v[3:4], off scope:SCOPE_SYS
	s_wait_loadcnt 0x0
	global_atomic_cmpswap_b64 v[8:9], v2, v[3:6], s[6:7] offset:24 th:TH_ATOMIC_RETURN scope:SCOPE_SYS
	s_wait_loadcnt 0x0
	global_inv scope:SCOPE_SYS
	v_cmpx_ne_u64_e64 v[8:9], v[5:6]
	s_cbranch_execz .LBB2_380
; %bb.377:
	s_mov_b32 s9, 0
.LBB2_378:                              ; =>This Inner Loop Header: Depth=1
	s_sleep 1
	s_clause 0x1
	global_load_b64 v[3:4], v2, s[6:7] offset:40
	global_load_b64 v[10:11], v2, s[6:7]
	v_dual_mov_b32 v5, v8 :: v_dual_mov_b32 v6, v9
	s_wait_loadcnt 0x1
	s_delay_alu instid0(VALU_DEP_1) | instskip(NEXT) | instid1(VALU_DEP_2)
	v_and_b32_e32 v3, v3, v5
	v_and_b32_e32 v4, v4, v6
	s_wait_loadcnt 0x0
	s_delay_alu instid0(VALU_DEP_2) | instskip(NEXT) | instid1(VALU_DEP_1)
	v_mad_co_u64_u32 v[7:8], null, v3, 24, v[10:11]
	v_mov_b32_e32 v3, v8
	s_delay_alu instid0(VALU_DEP_1) | instskip(NEXT) | instid1(VALU_DEP_1)
	v_mad_co_u64_u32 v[3:4], null, v4, 24, v[3:4]
	v_mov_b32_e32 v8, v3
	global_load_b64 v[3:4], v[7:8], off scope:SCOPE_SYS
	s_wait_loadcnt 0x0
	global_atomic_cmpswap_b64 v[8:9], v2, v[3:6], s[6:7] offset:24 th:TH_ATOMIC_RETURN scope:SCOPE_SYS
	s_wait_loadcnt 0x0
	global_inv scope:SCOPE_SYS
	v_cmp_eq_u64_e32 vcc_lo, v[8:9], v[5:6]
	s_wait_alu 0xfffe
	s_or_b32 s9, vcc_lo, s9
	s_wait_alu 0xfffe
	s_and_not1_b32 exec_lo, exec_lo, s9
	s_cbranch_execnz .LBB2_378
; %bb.379:
	s_or_b32 exec_lo, exec_lo, s9
.LBB2_380:
	s_wait_alu 0xfffe
	s_or_b32 exec_lo, exec_lo, s8
.LBB2_381:
	s_wait_alu 0xfffe
	s_or_b32 exec_lo, exec_lo, s3
	v_readfirstlane_b32 s8, v8
	v_mov_b32_e32 v3, 0
	v_readfirstlane_b32 s9, v9
	s_mov_b32 s3, exec_lo
	s_clause 0x1
	global_load_b64 v[10:11], v3, s[6:7] offset:40
	global_load_b128 v[4:7], v3, s[6:7]
	s_wait_loadcnt 0x1
	s_wait_alu 0xf1ff
	v_and_b32_e32 v11, s9, v11
	v_and_b32_e32 v10, s8, v10
	s_delay_alu instid0(VALU_DEP_2) | instskip(NEXT) | instid1(VALU_DEP_2)
	v_mul_lo_u32 v2, 24, v11
	v_mul_lo_u32 v8, 0, v10
	v_mul_hi_u32 v9, 24, v10
	v_mul_lo_u32 v12, 24, v10
	s_delay_alu instid0(VALU_DEP_3) | instskip(SKIP_1) | instid1(VALU_DEP_2)
	v_add_nc_u32_e32 v2, v2, v8
	s_wait_loadcnt 0x0
	v_add_co_u32 v8, vcc_lo, v4, v12
	s_delay_alu instid0(VALU_DEP_2) | instskip(SKIP_1) | instid1(VALU_DEP_1)
	v_add_nc_u32_e32 v2, v2, v9
	s_wait_alu 0xfffd
	v_add_co_ci_u32_e64 v9, null, v5, v2, vcc_lo
	s_and_saveexec_b32 s10, s2
	s_cbranch_execz .LBB2_383
; %bb.382:
	s_wait_alu 0xfffe
	v_dual_mov_b32 v2, s3 :: v_dual_mov_b32 v15, 1
	v_dual_mov_b32 v14, 2 :: v_dual_mov_b32 v13, v3
	s_delay_alu instid0(VALU_DEP_2)
	v_mov_b32_e32 v12, v2
	global_store_b128 v[8:9], v[12:15], off offset:8
.LBB2_383:
	s_wait_alu 0xfffe
	s_or_b32 exec_lo, exec_lo, s10
	v_lshlrev_b64_e32 v[10:11], 12, v[10:11]
	s_mov_b32 s12, 0
	v_and_or_b32 v0, 0xffffff1d, v0, 34
	s_wait_alu 0xfffe
	s_mov_b32 s13, s12
	s_mov_b32 s14, s12
	;; [unrolled: 1-line block ×3, first 2 shown]
	v_add_co_u32 v6, vcc_lo, v6, v10
	s_wait_alu 0xfffd
	v_add_co_ci_u32_e64 v7, null, v7, v11, vcc_lo
	v_mov_b32_e32 v2, 2
	s_delay_alu instid0(VALU_DEP_3)
	v_readfirstlane_b32 s10, v6
	s_wait_alu 0xfffe
	v_dual_mov_b32 v10, s12 :: v_dual_mov_b32 v13, s15
	v_readfirstlane_b32 s11, v7
	v_dual_mov_b32 v11, s13 :: v_dual_mov_b32 v12, s14
	s_clause 0x3
	global_store_b128 v28, v[0:3], s[10:11]
	global_store_b128 v28, v[10:13], s[10:11] offset:16
	global_store_b128 v28, v[10:13], s[10:11] offset:32
	;; [unrolled: 1-line block ×3, first 2 shown]
	s_and_saveexec_b32 s3, s2
	s_cbranch_execz .LBB2_391
; %bb.384:
	v_mov_b32_e32 v6, 0
	s_mov_b32 s10, exec_lo
	s_clause 0x1
	global_load_b64 v[12:13], v6, s[6:7] offset:32 scope:SCOPE_SYS
	global_load_b64 v[0:1], v6, s[6:7] offset:40
	v_dual_mov_b32 v11, s9 :: v_dual_mov_b32 v10, s8
	s_wait_loadcnt 0x0
	v_and_b32_e32 v1, s9, v1
	v_and_b32_e32 v0, s8, v0
	s_delay_alu instid0(VALU_DEP_2) | instskip(NEXT) | instid1(VALU_DEP_2)
	v_mul_lo_u32 v1, 24, v1
	v_mul_lo_u32 v2, 0, v0
	v_mul_hi_u32 v3, 24, v0
	v_mul_lo_u32 v0, 24, v0
	s_delay_alu instid0(VALU_DEP_3) | instskip(NEXT) | instid1(VALU_DEP_2)
	v_add_nc_u32_e32 v1, v1, v2
	v_add_co_u32 v4, vcc_lo, v4, v0
	s_delay_alu instid0(VALU_DEP_2) | instskip(SKIP_1) | instid1(VALU_DEP_1)
	v_add_nc_u32_e32 v1, v1, v3
	s_wait_alu 0xfffd
	v_add_co_ci_u32_e64 v5, null, v5, v1, vcc_lo
	global_store_b64 v[4:5], v[12:13], off
	global_wb scope:SCOPE_SYS
	s_wait_storecnt 0x0
	global_atomic_cmpswap_b64 v[2:3], v6, v[10:13], s[6:7] offset:32 th:TH_ATOMIC_RETURN scope:SCOPE_SYS
	s_wait_loadcnt 0x0
	v_cmpx_ne_u64_e64 v[2:3], v[12:13]
	s_cbranch_execz .LBB2_387
; %bb.385:
	s_mov_b32 s11, 0
.LBB2_386:                              ; =>This Inner Loop Header: Depth=1
	v_dual_mov_b32 v0, s8 :: v_dual_mov_b32 v1, s9
	s_sleep 1
	global_store_b64 v[4:5], v[2:3], off
	global_wb scope:SCOPE_SYS
	s_wait_storecnt 0x0
	global_atomic_cmpswap_b64 v[0:1], v6, v[0:3], s[6:7] offset:32 th:TH_ATOMIC_RETURN scope:SCOPE_SYS
	s_wait_loadcnt 0x0
	v_cmp_eq_u64_e32 vcc_lo, v[0:1], v[2:3]
	v_dual_mov_b32 v3, v1 :: v_dual_mov_b32 v2, v0
	s_wait_alu 0xfffe
	s_or_b32 s11, vcc_lo, s11
	s_wait_alu 0xfffe
	s_and_not1_b32 exec_lo, exec_lo, s11
	s_cbranch_execnz .LBB2_386
.LBB2_387:
	s_wait_alu 0xfffe
	s_or_b32 exec_lo, exec_lo, s10
	v_mov_b32_e32 v3, 0
	s_mov_b32 s11, exec_lo
	s_mov_b32 s10, exec_lo
	s_wait_alu 0xfffe
	v_mbcnt_lo_u32_b32 v2, s11, 0
	global_load_b64 v[0:1], v3, s[6:7] offset:16
	v_cmpx_eq_u32_e32 0, v2
	s_cbranch_execz .LBB2_389
; %bb.388:
	s_bcnt1_i32_b32 s11, s11
	s_wait_alu 0xfffe
	v_mov_b32_e32 v2, s11
	global_wb scope:SCOPE_SYS
	s_wait_loadcnt 0x0
	s_wait_storecnt 0x0
	global_atomic_add_u64 v[0:1], v[2:3], off offset:8 scope:SCOPE_SYS
.LBB2_389:
	s_or_b32 exec_lo, exec_lo, s10
	s_wait_loadcnt 0x0
	global_load_b64 v[2:3], v[0:1], off offset:16
	s_wait_loadcnt 0x0
	v_cmp_eq_u64_e32 vcc_lo, 0, v[2:3]
	s_cbranch_vccnz .LBB2_391
; %bb.390:
	global_load_b32 v0, v[0:1], off offset:24
	v_mov_b32_e32 v1, 0
	s_wait_loadcnt 0x0
	v_readfirstlane_b32 s10, v0
	global_wb scope:SCOPE_SYS
	s_wait_storecnt 0x0
	global_store_b64 v[2:3], v[0:1], off scope:SCOPE_SYS
	s_and_b32 m0, s10, 0xffffff
	s_sendmsg sendmsg(MSG_INTERRUPT)
.LBB2_391:
	s_wait_alu 0xfffe
	s_or_b32 exec_lo, exec_lo, s3
	s_branch .LBB2_395
.LBB2_392:                              ;   in Loop: Header=BB2_395 Depth=1
	s_wait_alu 0xfffe
	s_or_b32 exec_lo, exec_lo, s3
	s_delay_alu instid0(VALU_DEP_1)
	v_readfirstlane_b32 s3, v0
	s_cmp_eq_u32 s3, 0
	s_cbranch_scc1 .LBB2_394
; %bb.393:                              ;   in Loop: Header=BB2_395 Depth=1
	s_sleep 1
	s_cbranch_execnz .LBB2_395
	s_branch .LBB2_397
.LBB2_394:
	s_branch .LBB2_397
.LBB2_395:                              ; =>This Inner Loop Header: Depth=1
	v_mov_b32_e32 v0, 1
	s_and_saveexec_b32 s3, s2
	s_cbranch_execz .LBB2_392
; %bb.396:                              ;   in Loop: Header=BB2_395 Depth=1
	global_load_b32 v0, v[8:9], off offset:20 scope:SCOPE_SYS
	s_wait_loadcnt 0x0
	global_inv scope:SCOPE_SYS
	v_and_b32_e32 v0, 1, v0
	s_branch .LBB2_392
.LBB2_397:
	s_and_b32 exec_lo, exec_lo, s2
	s_cbranch_execz .LBB2_401
; %bb.398:
	v_mov_b32_e32 v6, 0
	s_clause 0x2
	global_load_b64 v[0:1], v6, s[6:7] offset:40
	global_load_b64 v[9:10], v6, s[6:7] offset:24 scope:SCOPE_SYS
	global_load_b64 v[2:3], v6, s[6:7]
	s_wait_loadcnt 0x2
	v_readfirstlane_b32 s10, v0
	v_readfirstlane_b32 s11, v1
	s_add_nc_u64 s[2:3], s[10:11], 1
	s_wait_alu 0xfffe
	s_add_nc_u64 s[8:9], s[2:3], s[8:9]
	s_wait_alu 0xfffe
	s_cmp_eq_u64 s[8:9], 0
	s_cselect_b32 s3, s3, s9
	s_cselect_b32 s2, s2, s8
	s_wait_alu 0xfffe
	v_mov_b32_e32 v8, s3
	s_and_b64 s[8:9], s[2:3], s[10:11]
	v_mov_b32_e32 v7, s2
	s_wait_alu 0xfffe
	s_mul_u64 s[8:9], s[8:9], 24
	s_wait_loadcnt 0x0
	s_wait_alu 0xfffe
	v_add_co_u32 v4, vcc_lo, v2, s8
	s_wait_alu 0xfffd
	v_add_co_ci_u32_e64 v5, null, s9, v3, vcc_lo
	global_store_b64 v[4:5], v[9:10], off
	global_wb scope:SCOPE_SYS
	s_wait_storecnt 0x0
	global_atomic_cmpswap_b64 v[2:3], v6, v[7:10], s[6:7] offset:24 th:TH_ATOMIC_RETURN scope:SCOPE_SYS
	s_wait_loadcnt 0x0
	v_cmp_ne_u64_e32 vcc_lo, v[2:3], v[9:10]
	s_and_b32 exec_lo, exec_lo, vcc_lo
	s_cbranch_execz .LBB2_401
; %bb.399:
	s_mov_b32 s8, 0
.LBB2_400:                              ; =>This Inner Loop Header: Depth=1
	v_dual_mov_b32 v0, s2 :: v_dual_mov_b32 v1, s3
	s_sleep 1
	global_store_b64 v[4:5], v[2:3], off
	global_wb scope:SCOPE_SYS
	s_wait_storecnt 0x0
	global_atomic_cmpswap_b64 v[0:1], v6, v[0:3], s[6:7] offset:24 th:TH_ATOMIC_RETURN scope:SCOPE_SYS
	s_wait_loadcnt 0x0
	v_cmp_eq_u64_e32 vcc_lo, v[0:1], v[2:3]
	v_dual_mov_b32 v3, v1 :: v_dual_mov_b32 v2, v0
	s_wait_alu 0xfffe
	s_or_b32 s8, vcc_lo, s8
	s_wait_alu 0xfffe
	s_and_not1_b32 exec_lo, exec_lo, s8
	s_cbranch_execnz .LBB2_400
.LBB2_401:
	s_wait_alu 0xfffe
	s_or_b32 exec_lo, exec_lo, s23
	v_and_b32_e32 v0, -2, v29
	v_and_b32_e32 v5, 1, v29
	s_wait_loadcnt 0x0
	s_wait_storecnt 0x0
	s_barrier_signal -1
	s_barrier_wait -1
	v_ashrrev_i32_e32 v1, 31, v0
	v_lshlrev_b32_e32 v2, 2, v5
	global_inv scope:SCOPE_SE
	v_lshlrev_b64_e32 v[0:1], 2, v[0:1]
	s_delay_alu instid0(VALU_DEP_1) | instskip(SKIP_1) | instid1(VALU_DEP_2)
	v_add_co_u32 v0, vcc_lo, s22, v0
	s_wait_alu 0xfffd
	v_add_co_ci_u32_e64 v1, null, s21, v1, vcc_lo
	s_delay_alu instid0(VALU_DEP_2) | instskip(SKIP_1) | instid1(VALU_DEP_2)
	v_add_co_u32 v3, vcc_lo, v0, v2
	s_wait_alu 0xfffd
	v_add_co_ci_u32_e64 v4, null, 0, v1, vcc_lo
	v_mov_b32_e32 v2, -1
	v_cmp_eq_u32_e32 vcc_lo, 0, v5
	flat_store_b32 v[3:4], v29
	s_wait_storecnt 0x0
	s_wait_loadcnt_dscnt 0x0
	global_inv scope:SCOPE_DEV
	s_and_saveexec_b32 s2, vcc_lo
	s_cbranch_execnz .LBB2_404
; %bb.402:
	s_wait_alu 0xfffe
	s_or_b32 exec_lo, exec_lo, s2
	s_wait_loadcnt 0x0
	global_inv scope:SCOPE_DEV
	s_and_saveexec_b32 s2, vcc_lo
	s_cbranch_execnz .LBB2_405
.LBB2_403:
	s_endpgm
.LBB2_404:
	flat_load_b32 v0, v[0:1] offset:4
	s_wait_loadcnt_dscnt 0x0
	v_add_nc_u32_e32 v2, v0, v29
	s_wait_alu 0xfffe
	s_or_b32 exec_lo, exec_lo, s2
	global_inv scope:SCOPE_DEV
	s_and_saveexec_b32 s2, vcc_lo
	s_cbranch_execz .LBB2_403
.LBB2_405:
	s_load_b64 s[4:5], s[4:5], 0x50
	v_mbcnt_lo_u32_b32 v33, -1, 0
	v_mov_b32_e32 v0, 0
	v_mov_b32_e32 v1, 0
	s_delay_alu instid0(VALU_DEP_3) | instskip(SKIP_1) | instid1(VALU_DEP_1)
	v_readfirstlane_b32 s2, v33
	s_wait_alu 0xf1ff
	v_cmp_eq_u32_e64 s2, s2, v33
	s_and_saveexec_b32 s3, s2
	s_cbranch_execz .LBB2_411
; %bb.406:
	v_mov_b32_e32 v3, 0
	s_mov_b32 s6, exec_lo
	s_wait_kmcnt 0x0
	global_load_b64 v[6:7], v3, s[4:5] offset:24 scope:SCOPE_SYS
	s_wait_loadcnt 0x0
	global_inv scope:SCOPE_SYS
	s_clause 0x1
	global_load_b64 v[0:1], v3, s[4:5] offset:40
	global_load_b64 v[4:5], v3, s[4:5]
	s_wait_loadcnt 0x1
	v_and_b32_e32 v1, v1, v7
	v_and_b32_e32 v0, v0, v6
	s_delay_alu instid0(VALU_DEP_2) | instskip(NEXT) | instid1(VALU_DEP_2)
	v_mul_lo_u32 v1, 24, v1
	v_mul_lo_u32 v8, 0, v0
	v_mul_hi_u32 v9, 24, v0
	v_mul_lo_u32 v0, 24, v0
	s_delay_alu instid0(VALU_DEP_3) | instskip(SKIP_1) | instid1(VALU_DEP_2)
	v_add_nc_u32_e32 v1, v1, v8
	s_wait_loadcnt 0x0
	v_add_co_u32 v0, vcc_lo, v4, v0
	s_delay_alu instid0(VALU_DEP_2) | instskip(SKIP_1) | instid1(VALU_DEP_1)
	v_add_nc_u32_e32 v1, v1, v9
	s_wait_alu 0xfffd
	v_add_co_ci_u32_e64 v1, null, v5, v1, vcc_lo
	global_load_b64 v[4:5], v[0:1], off scope:SCOPE_SYS
	s_wait_loadcnt 0x0
	global_atomic_cmpswap_b64 v[0:1], v3, v[4:7], s[4:5] offset:24 th:TH_ATOMIC_RETURN scope:SCOPE_SYS
	s_wait_loadcnt 0x0
	global_inv scope:SCOPE_SYS
	v_cmpx_ne_u64_e64 v[0:1], v[6:7]
	s_cbranch_execz .LBB2_410
; %bb.407:
	s_mov_b32 s7, 0
.LBB2_408:                              ; =>This Inner Loop Header: Depth=1
	s_sleep 1
	s_clause 0x1
	global_load_b64 v[4:5], v3, s[4:5] offset:40
	global_load_b64 v[8:9], v3, s[4:5]
	v_dual_mov_b32 v7, v1 :: v_dual_mov_b32 v6, v0
	s_wait_loadcnt 0x1
	s_delay_alu instid0(VALU_DEP_1) | instskip(NEXT) | instid1(VALU_DEP_2)
	v_and_b32_e32 v0, v4, v6
	v_and_b32_e32 v4, v5, v7
	s_wait_loadcnt 0x0
	s_delay_alu instid0(VALU_DEP_2) | instskip(NEXT) | instid1(VALU_DEP_1)
	v_mad_co_u64_u32 v[0:1], null, v0, 24, v[8:9]
	v_mad_co_u64_u32 v[4:5], null, v4, 24, v[1:2]
	s_delay_alu instid0(VALU_DEP_1)
	v_mov_b32_e32 v1, v4
	global_load_b64 v[4:5], v[0:1], off scope:SCOPE_SYS
	s_wait_loadcnt 0x0
	global_atomic_cmpswap_b64 v[0:1], v3, v[4:7], s[4:5] offset:24 th:TH_ATOMIC_RETURN scope:SCOPE_SYS
	s_wait_loadcnt 0x0
	global_inv scope:SCOPE_SYS
	v_cmp_eq_u64_e32 vcc_lo, v[0:1], v[6:7]
	s_wait_alu 0xfffe
	s_or_b32 s7, vcc_lo, s7
	s_wait_alu 0xfffe
	s_and_not1_b32 exec_lo, exec_lo, s7
	s_cbranch_execnz .LBB2_408
; %bb.409:
	s_or_b32 exec_lo, exec_lo, s7
.LBB2_410:
	s_wait_alu 0xfffe
	s_or_b32 exec_lo, exec_lo, s6
.LBB2_411:
	s_wait_alu 0xfffe
	s_or_b32 exec_lo, exec_lo, s3
	v_readfirstlane_b32 s6, v0
	v_mov_b32_e32 v8, 0
	v_readfirstlane_b32 s7, v1
	s_mov_b32 s3, exec_lo
	s_wait_kmcnt 0x0
	s_clause 0x1
	global_load_b64 v[9:10], v8, s[4:5] offset:40
	global_load_b128 v[3:6], v8, s[4:5]
	s_wait_loadcnt 0x1
	s_wait_alu 0xf1ff
	v_and_b32_e32 v12, s7, v10
	v_and_b32_e32 v11, s6, v9
	s_delay_alu instid0(VALU_DEP_2) | instskip(NEXT) | instid1(VALU_DEP_2)
	v_mul_lo_u32 v0, 24, v12
	v_mul_lo_u32 v1, 0, v11
	v_mul_hi_u32 v7, 24, v11
	v_mul_lo_u32 v9, 24, v11
	s_delay_alu instid0(VALU_DEP_3) | instskip(NEXT) | instid1(VALU_DEP_1)
	v_add_nc_u32_e32 v0, v0, v1
	v_add_nc_u32_e32 v1, v0, v7
	s_wait_loadcnt 0x0
	s_delay_alu instid0(VALU_DEP_3) | instskip(SKIP_1) | instid1(VALU_DEP_2)
	v_add_co_u32 v0, vcc_lo, v3, v9
	s_wait_alu 0xfffd
	v_add_co_ci_u32_e64 v1, null, v4, v1, vcc_lo
	s_and_saveexec_b32 s8, s2
	s_cbranch_execz .LBB2_413
; %bb.412:
	s_wait_alu 0xfffe
	v_dual_mov_b32 v7, s3 :: v_dual_mov_b32 v10, 1
	v_mov_b32_e32 v9, 2
	global_store_b128 v[0:1], v[7:10], off offset:8
.LBB2_413:
	s_wait_alu 0xfffe
	s_or_b32 exec_lo, exec_lo, s8
	v_lshlrev_b64_e32 v[10:11], 12, v[11:12]
	v_dual_mov_b32 v7, 33 :: v_dual_lshlrev_b32 v32, 6, v33
	s_mov_b32 s8, 0
	v_mov_b32_e32 v9, v8
	s_wait_alu 0xfffe
	s_mov_b32 s11, s8
	v_add_co_u32 v5, vcc_lo, v5, v10
	s_wait_alu 0xfffd
	v_add_co_ci_u32_e64 v6, null, v6, v11, vcc_lo
	s_mov_b32 s9, s8
	v_add_co_u32 v11, vcc_lo, v5, v32
	s_mov_b32 s10, s8
	v_mov_b32_e32 v10, v8
	v_readfirstlane_b32 s12, v5
	v_readfirstlane_b32 s13, v6
	s_wait_alu 0xfffe
	v_dual_mov_b32 v16, s11 :: v_dual_mov_b32 v15, s10
	s_wait_alu 0xfffd
	v_add_co_ci_u32_e64 v12, null, 0, v6, vcc_lo
	v_dual_mov_b32 v14, s9 :: v_dual_mov_b32 v13, s8
	s_clause 0x3
	global_store_b128 v32, v[7:10], s[12:13]
	global_store_b128 v32, v[13:16], s[12:13] offset:16
	global_store_b128 v32, v[13:16], s[12:13] offset:32
	;; [unrolled: 1-line block ×3, first 2 shown]
	s_and_saveexec_b32 s3, s2
	s_cbranch_execz .LBB2_421
; %bb.414:
	v_mov_b32_e32 v9, 0
	s_mov_b32 s8, exec_lo
	s_clause 0x1
	global_load_b64 v[15:16], v9, s[4:5] offset:32 scope:SCOPE_SYS
	global_load_b64 v[5:6], v9, s[4:5] offset:40
	v_dual_mov_b32 v14, s7 :: v_dual_mov_b32 v13, s6
	s_wait_loadcnt 0x0
	v_and_b32_e32 v6, s7, v6
	v_and_b32_e32 v5, s6, v5
	s_delay_alu instid0(VALU_DEP_2) | instskip(NEXT) | instid1(VALU_DEP_2)
	v_mul_lo_u32 v6, 24, v6
	v_mul_lo_u32 v7, 0, v5
	v_mul_hi_u32 v8, 24, v5
	v_mul_lo_u32 v5, 24, v5
	s_delay_alu instid0(VALU_DEP_3) | instskip(NEXT) | instid1(VALU_DEP_2)
	v_add_nc_u32_e32 v6, v6, v7
	v_add_co_u32 v7, vcc_lo, v3, v5
	s_delay_alu instid0(VALU_DEP_2) | instskip(SKIP_1) | instid1(VALU_DEP_1)
	v_add_nc_u32_e32 v6, v6, v8
	s_wait_alu 0xfffd
	v_add_co_ci_u32_e64 v8, null, v4, v6, vcc_lo
	global_store_b64 v[7:8], v[15:16], off
	global_wb scope:SCOPE_SYS
	s_wait_storecnt 0x0
	global_atomic_cmpswap_b64 v[5:6], v9, v[13:16], s[4:5] offset:32 th:TH_ATOMIC_RETURN scope:SCOPE_SYS
	s_wait_loadcnt 0x0
	v_cmpx_ne_u64_e64 v[5:6], v[15:16]
	s_cbranch_execz .LBB2_417
; %bb.415:
	s_mov_b32 s9, 0
.LBB2_416:                              ; =>This Inner Loop Header: Depth=1
	v_dual_mov_b32 v3, s6 :: v_dual_mov_b32 v4, s7
	s_sleep 1
	global_store_b64 v[7:8], v[5:6], off
	global_wb scope:SCOPE_SYS
	s_wait_storecnt 0x0
	global_atomic_cmpswap_b64 v[3:4], v9, v[3:6], s[4:5] offset:32 th:TH_ATOMIC_RETURN scope:SCOPE_SYS
	s_wait_loadcnt 0x0
	v_cmp_eq_u64_e32 vcc_lo, v[3:4], v[5:6]
	v_dual_mov_b32 v6, v4 :: v_dual_mov_b32 v5, v3
	s_wait_alu 0xfffe
	s_or_b32 s9, vcc_lo, s9
	s_wait_alu 0xfffe
	s_and_not1_b32 exec_lo, exec_lo, s9
	s_cbranch_execnz .LBB2_416
.LBB2_417:
	s_wait_alu 0xfffe
	s_or_b32 exec_lo, exec_lo, s8
	v_mov_b32_e32 v6, 0
	s_mov_b32 s9, exec_lo
	s_mov_b32 s8, exec_lo
	s_wait_alu 0xfffe
	v_mbcnt_lo_u32_b32 v5, s9, 0
	global_load_b64 v[3:4], v6, s[4:5] offset:16
	v_cmpx_eq_u32_e32 0, v5
	s_cbranch_execz .LBB2_419
; %bb.418:
	s_bcnt1_i32_b32 s9, s9
	s_wait_alu 0xfffe
	v_mov_b32_e32 v5, s9
	global_wb scope:SCOPE_SYS
	s_wait_loadcnt 0x0
	s_wait_storecnt 0x0
	global_atomic_add_u64 v[3:4], v[5:6], off offset:8 scope:SCOPE_SYS
.LBB2_419:
	s_or_b32 exec_lo, exec_lo, s8
	s_wait_loadcnt 0x0
	global_load_b64 v[5:6], v[3:4], off offset:16
	s_wait_loadcnt 0x0
	v_cmp_eq_u64_e32 vcc_lo, 0, v[5:6]
	s_cbranch_vccnz .LBB2_421
; %bb.420:
	global_load_b32 v3, v[3:4], off offset:24
	v_mov_b32_e32 v4, 0
	s_wait_loadcnt 0x0
	v_readfirstlane_b32 s8, v3
	global_wb scope:SCOPE_SYS
	s_wait_storecnt 0x0
	global_store_b64 v[5:6], v[3:4], off scope:SCOPE_SYS
	s_and_b32 m0, s8, 0xffffff
	s_sendmsg sendmsg(MSG_INTERRUPT)
.LBB2_421:
	s_wait_alu 0xfffe
	s_or_b32 exec_lo, exec_lo, s3
	s_branch .LBB2_425
.LBB2_422:                              ;   in Loop: Header=BB2_425 Depth=1
	s_wait_alu 0xfffe
	s_or_b32 exec_lo, exec_lo, s3
	s_delay_alu instid0(VALU_DEP_1)
	v_readfirstlane_b32 s3, v3
	s_cmp_eq_u32 s3, 0
	s_cbranch_scc1 .LBB2_424
; %bb.423:                              ;   in Loop: Header=BB2_425 Depth=1
	s_sleep 1
	s_cbranch_execnz .LBB2_425
	s_branch .LBB2_427
.LBB2_424:
	s_branch .LBB2_427
.LBB2_425:                              ; =>This Inner Loop Header: Depth=1
	v_mov_b32_e32 v3, 1
	s_and_saveexec_b32 s3, s2
	s_cbranch_execz .LBB2_422
; %bb.426:                              ;   in Loop: Header=BB2_425 Depth=1
	global_load_b32 v3, v[0:1], off offset:20 scope:SCOPE_SYS
	s_wait_loadcnt 0x0
	global_inv scope:SCOPE_SYS
	v_and_b32_e32 v3, 1, v3
	s_branch .LBB2_422
.LBB2_427:
	global_load_b64 v[3:4], v[11:12], off
	s_and_saveexec_b32 s8, s2
	s_cbranch_execz .LBB2_431
; %bb.428:
	v_mov_b32_e32 v9, 0
	s_clause 0x2
	global_load_b64 v[0:1], v9, s[4:5] offset:40
	global_load_b64 v[12:13], v9, s[4:5] offset:24 scope:SCOPE_SYS
	global_load_b64 v[5:6], v9, s[4:5]
	s_wait_loadcnt 0x2
	v_readfirstlane_b32 s10, v0
	v_readfirstlane_b32 s11, v1
	s_add_nc_u64 s[2:3], s[10:11], 1
	s_wait_alu 0xfffe
	s_add_nc_u64 s[6:7], s[2:3], s[6:7]
	s_wait_alu 0xfffe
	s_cmp_eq_u64 s[6:7], 0
	s_cselect_b32 s3, s3, s7
	s_cselect_b32 s2, s2, s6
	s_wait_alu 0xfffe
	v_mov_b32_e32 v11, s3
	s_and_b64 s[6:7], s[2:3], s[10:11]
	v_mov_b32_e32 v10, s2
	s_wait_alu 0xfffe
	s_mul_u64 s[6:7], s[6:7], 24
	s_wait_loadcnt 0x0
	s_wait_alu 0xfffe
	v_add_co_u32 v0, vcc_lo, v5, s6
	s_wait_alu 0xfffd
	v_add_co_ci_u32_e64 v1, null, s7, v6, vcc_lo
	global_store_b64 v[0:1], v[12:13], off
	global_wb scope:SCOPE_SYS
	s_wait_storecnt 0x0
	global_atomic_cmpswap_b64 v[7:8], v9, v[10:13], s[4:5] offset:24 th:TH_ATOMIC_RETURN scope:SCOPE_SYS
	s_wait_loadcnt 0x0
	v_cmp_ne_u64_e32 vcc_lo, v[7:8], v[12:13]
	s_and_b32 exec_lo, exec_lo, vcc_lo
	s_cbranch_execz .LBB2_431
; %bb.429:
	s_mov_b32 s6, 0
.LBB2_430:                              ; =>This Inner Loop Header: Depth=1
	v_dual_mov_b32 v5, s2 :: v_dual_mov_b32 v6, s3
	s_sleep 1
	global_store_b64 v[0:1], v[7:8], off
	global_wb scope:SCOPE_SYS
	s_wait_storecnt 0x0
	global_atomic_cmpswap_b64 v[5:6], v9, v[5:8], s[4:5] offset:24 th:TH_ATOMIC_RETURN scope:SCOPE_SYS
	s_wait_loadcnt 0x0
	v_cmp_eq_u64_e32 vcc_lo, v[5:6], v[7:8]
	v_dual_mov_b32 v8, v6 :: v_dual_mov_b32 v7, v5
	s_wait_alu 0xfffe
	s_or_b32 s6, vcc_lo, s6
	s_wait_alu 0xfffe
	s_and_not1_b32 exec_lo, exec_lo, s6
	s_cbranch_execnz .LBB2_430
.LBB2_431:
	s_wait_alu 0xfffe
	s_or_b32 exec_lo, exec_lo, s8
	s_getpc_b64 s[2:3]
	s_wait_alu 0xfffe
	s_sext_i32_i16 s3, s3
	s_add_co_u32 s2, s2, .str.9@rel32@lo+12
	s_wait_alu 0xfffe
	s_add_co_ci_u32 s3, s3, .str.9@rel32@hi+24
	s_mov_b64 s[6:7], 0
	s_wait_alu 0xfffe
	s_cmp_lg_u64 s[2:3], 0
	s_cselect_b32 s8, -1, 0
	s_cmp_eq_u64 s[2:3], 0
	s_cbranch_scc1 .LBB2_435
; %bb.432:
	s_getpc_b64 s[2:3]
	s_wait_alu 0xfffe
	s_sext_i32_i16 s3, s3
	s_add_co_u32 s2, s2, .str.9@rel32@lo+11
	s_wait_alu 0xfffe
	s_add_co_ci_u32 s3, s3, .str.9@rel32@hi+23
.LBB2_433:                              ; =>This Inner Loop Header: Depth=1
	s_load_u8 s6, s[2:3], 0x1
	s_add_nc_u64 s[2:3], s[2:3], 1
	s_wait_kmcnt 0x0
	s_cmp_lg_u32 s6, 0
	s_cbranch_scc1 .LBB2_433
; %bb.434:
	s_getpc_b64 s[6:7]
	s_wait_alu 0xfffe
	s_sext_i32_i16 s7, s7
	s_add_co_u32 s6, s6, .str.9@rel32@lo+12
	s_wait_alu 0xfffe
	s_add_co_ci_u32 s7, s7, .str.9@rel32@hi+24
	s_wait_alu 0xfffe
	s_sub_nc_u64 s[2:3], s[2:3], s[6:7]
	s_wait_alu 0xfffe
	s_add_nc_u64 s[6:7], s[2:3], 1
.LBB2_435:
	s_wait_alu 0xfffe
	s_and_b32 vcc_lo, exec_lo, s8
	s_wait_alu 0xfffe
	s_cbranch_vccz .LBB2_514
; %bb.436:
	s_wait_loadcnt 0x0
	v_dual_mov_b32 v11, 2 :: v_dual_and_b32 v34, 2, v3
	v_dual_mov_b32 v10, 0 :: v_dual_and_b32 v5, -3, v3
	v_mov_b32_e32 v6, v4
	v_mov_b32_e32 v12, 1
	s_getpc_b64 s[8:9]
	s_wait_alu 0xfffe
	s_sext_i32_i16 s9, s9
	s_add_co_u32 s8, s8, .str.9@rel32@lo+12
	s_wait_alu 0xfffe
	s_add_co_ci_u32 s9, s9, .str.9@rel32@hi+24
	s_branch .LBB2_438
.LBB2_437:                              ;   in Loop: Header=BB2_438 Depth=1
	s_wait_alu 0xfffe
	s_or_b32 exec_lo, exec_lo, s14
	s_sub_nc_u64 s[6:7], s[6:7], s[10:11]
	s_add_nc_u64 s[8:9], s[8:9], s[10:11]
	s_wait_alu 0xfffe
	s_cmp_lg_u64 s[6:7], 0
	s_cbranch_scc0 .LBB2_513
.LBB2_438:                              ; =>This Loop Header: Depth=1
                                        ;     Child Loop BB2_441 Depth 2
                                        ;     Child Loop BB2_448 Depth 2
	;; [unrolled: 1-line block ×11, first 2 shown]
	v_cmp_lt_u64_e64 s2, s[6:7], 56
	v_cmp_gt_u64_e64 s3, s[6:7], 7
	s_and_b32 s2, s2, exec_lo
	s_cselect_b32 s11, s7, 0
	s_cselect_b32 s10, s6, 56
	s_and_b32 vcc_lo, exec_lo, s3
	s_wait_alu 0xfffe
	s_cbranch_vccnz .LBB2_443
; %bb.439:                              ;   in Loop: Header=BB2_438 Depth=1
	v_mov_b32_e32 v7, 0
	v_mov_b32_e32 v8, 0
	s_cmp_eq_u64 s[6:7], 0
	s_cbranch_scc1 .LBB2_442
; %bb.440:                              ;   in Loop: Header=BB2_438 Depth=1
	s_mov_b64 s[2:3], 0
	s_mov_b64 s[12:13], 0
.LBB2_441:                              ;   Parent Loop BB2_438 Depth=1
                                        ; =>  This Inner Loop Header: Depth=2
	s_wait_alu 0xfffe
	s_add_nc_u64 s[14:15], s[8:9], s[12:13]
	s_add_nc_u64 s[12:13], s[12:13], 1
	global_load_u8 v0, v10, s[14:15]
	s_wait_alu 0xfffe
	s_cmp_lg_u32 s10, s12
	s_wait_loadcnt 0x0
	v_and_b32_e32 v9, 0xffff, v0
	s_delay_alu instid0(VALU_DEP_1) | instskip(SKIP_1) | instid1(VALU_DEP_1)
	v_lshlrev_b64_e32 v[0:1], s2, v[9:10]
	s_add_nc_u64 s[2:3], s[2:3], 8
	v_or_b32_e32 v7, v0, v7
	s_delay_alu instid0(VALU_DEP_2)
	v_or_b32_e32 v8, v1, v8
	s_cbranch_scc1 .LBB2_441
.LBB2_442:                              ;   in Loop: Header=BB2_438 Depth=1
	s_mov_b64 s[12:13], s[8:9]
	s_mov_b32 s16, 0
	s_cbranch_execz .LBB2_444
	s_branch .LBB2_445
.LBB2_443:                              ;   in Loop: Header=BB2_438 Depth=1
	s_add_nc_u64 s[12:13], s[8:9], 8
	s_mov_b32 s16, 0
.LBB2_444:                              ;   in Loop: Header=BB2_438 Depth=1
	global_load_b64 v[7:8], v10, s[8:9]
	s_add_co_i32 s16, s10, -8
.LBB2_445:                              ;   in Loop: Header=BB2_438 Depth=1
	s_wait_alu 0xfffe
	s_cmp_gt_u32 s16, 7
	s_cbranch_scc1 .LBB2_450
; %bb.446:                              ;   in Loop: Header=BB2_438 Depth=1
	v_mov_b32_e32 v13, 0
	v_mov_b32_e32 v14, 0
	s_cmp_eq_u32 s16, 0
	s_cbranch_scc1 .LBB2_449
; %bb.447:                              ;   in Loop: Header=BB2_438 Depth=1
	s_mov_b64 s[2:3], 0
	s_mov_b64 s[14:15], 0
.LBB2_448:                              ;   Parent Loop BB2_438 Depth=1
                                        ; =>  This Inner Loop Header: Depth=2
	s_wait_alu 0xfffe
	s_add_nc_u64 s[18:19], s[12:13], s[14:15]
	s_add_nc_u64 s[14:15], s[14:15], 1
	global_load_u8 v0, v10, s[18:19]
	s_wait_alu 0xfffe
	s_cmp_lg_u32 s16, s14
	s_wait_loadcnt 0x0
	v_and_b32_e32 v9, 0xffff, v0
	s_delay_alu instid0(VALU_DEP_1) | instskip(SKIP_1) | instid1(VALU_DEP_1)
	v_lshlrev_b64_e32 v[0:1], s2, v[9:10]
	s_add_nc_u64 s[2:3], s[2:3], 8
	v_or_b32_e32 v13, v0, v13
	s_delay_alu instid0(VALU_DEP_2)
	v_or_b32_e32 v14, v1, v14
	s_cbranch_scc1 .LBB2_448
.LBB2_449:                              ;   in Loop: Header=BB2_438 Depth=1
	s_mov_b64 s[2:3], s[12:13]
	s_mov_b32 s17, 0
	s_cbranch_execz .LBB2_451
	s_branch .LBB2_452
.LBB2_450:                              ;   in Loop: Header=BB2_438 Depth=1
	s_add_nc_u64 s[2:3], s[12:13], 8
                                        ; implicit-def: $vgpr13_vgpr14
	s_mov_b32 s17, 0
.LBB2_451:                              ;   in Loop: Header=BB2_438 Depth=1
	global_load_b64 v[13:14], v10, s[12:13]
	s_add_co_i32 s17, s16, -8
.LBB2_452:                              ;   in Loop: Header=BB2_438 Depth=1
	s_wait_alu 0xfffe
	s_cmp_gt_u32 s17, 7
	s_cbranch_scc1 .LBB2_457
; %bb.453:                              ;   in Loop: Header=BB2_438 Depth=1
	v_mov_b32_e32 v15, 0
	v_mov_b32_e32 v16, 0
	s_cmp_eq_u32 s17, 0
	s_cbranch_scc1 .LBB2_456
; %bb.454:                              ;   in Loop: Header=BB2_438 Depth=1
	s_mov_b64 s[12:13], 0
	s_mov_b64 s[14:15], 0
.LBB2_455:                              ;   Parent Loop BB2_438 Depth=1
                                        ; =>  This Inner Loop Header: Depth=2
	s_wait_alu 0xfffe
	s_add_nc_u64 s[18:19], s[2:3], s[14:15]
	s_add_nc_u64 s[14:15], s[14:15], 1
	global_load_u8 v0, v10, s[18:19]
	s_wait_alu 0xfffe
	s_cmp_lg_u32 s17, s14
	s_wait_loadcnt 0x0
	v_and_b32_e32 v9, 0xffff, v0
	s_delay_alu instid0(VALU_DEP_1) | instskip(SKIP_1) | instid1(VALU_DEP_1)
	v_lshlrev_b64_e32 v[0:1], s12, v[9:10]
	s_add_nc_u64 s[12:13], s[12:13], 8
	v_or_b32_e32 v15, v0, v15
	s_delay_alu instid0(VALU_DEP_2)
	v_or_b32_e32 v16, v1, v16
	s_cbranch_scc1 .LBB2_455
.LBB2_456:                              ;   in Loop: Header=BB2_438 Depth=1
	s_mov_b64 s[12:13], s[2:3]
	s_mov_b32 s16, 0
	s_cbranch_execz .LBB2_458
	s_branch .LBB2_459
.LBB2_457:                              ;   in Loop: Header=BB2_438 Depth=1
	s_add_nc_u64 s[12:13], s[2:3], 8
	s_mov_b32 s16, 0
.LBB2_458:                              ;   in Loop: Header=BB2_438 Depth=1
	global_load_b64 v[15:16], v10, s[2:3]
	s_add_co_i32 s16, s17, -8
.LBB2_459:                              ;   in Loop: Header=BB2_438 Depth=1
	s_wait_alu 0xfffe
	s_cmp_gt_u32 s16, 7
	s_cbranch_scc1 .LBB2_464
; %bb.460:                              ;   in Loop: Header=BB2_438 Depth=1
	v_mov_b32_e32 v17, 0
	v_mov_b32_e32 v18, 0
	s_cmp_eq_u32 s16, 0
	s_cbranch_scc1 .LBB2_463
; %bb.461:                              ;   in Loop: Header=BB2_438 Depth=1
	s_mov_b64 s[2:3], 0
	s_mov_b64 s[14:15], 0
.LBB2_462:                              ;   Parent Loop BB2_438 Depth=1
                                        ; =>  This Inner Loop Header: Depth=2
	s_wait_alu 0xfffe
	s_add_nc_u64 s[18:19], s[12:13], s[14:15]
	s_add_nc_u64 s[14:15], s[14:15], 1
	global_load_u8 v0, v10, s[18:19]
	s_wait_alu 0xfffe
	s_cmp_lg_u32 s16, s14
	s_wait_loadcnt 0x0
	v_and_b32_e32 v9, 0xffff, v0
	s_delay_alu instid0(VALU_DEP_1) | instskip(SKIP_1) | instid1(VALU_DEP_1)
	v_lshlrev_b64_e32 v[0:1], s2, v[9:10]
	s_add_nc_u64 s[2:3], s[2:3], 8
	v_or_b32_e32 v17, v0, v17
	s_delay_alu instid0(VALU_DEP_2)
	v_or_b32_e32 v18, v1, v18
	s_cbranch_scc1 .LBB2_462
.LBB2_463:                              ;   in Loop: Header=BB2_438 Depth=1
	s_mov_b64 s[2:3], s[12:13]
	s_mov_b32 s17, 0
	s_cbranch_execz .LBB2_465
	s_branch .LBB2_466
.LBB2_464:                              ;   in Loop: Header=BB2_438 Depth=1
	s_add_nc_u64 s[2:3], s[12:13], 8
                                        ; implicit-def: $vgpr17_vgpr18
	s_mov_b32 s17, 0
.LBB2_465:                              ;   in Loop: Header=BB2_438 Depth=1
	global_load_b64 v[17:18], v10, s[12:13]
	s_add_co_i32 s17, s16, -8
.LBB2_466:                              ;   in Loop: Header=BB2_438 Depth=1
	s_wait_alu 0xfffe
	s_cmp_gt_u32 s17, 7
	s_cbranch_scc1 .LBB2_471
; %bb.467:                              ;   in Loop: Header=BB2_438 Depth=1
	v_mov_b32_e32 v19, 0
	v_mov_b32_e32 v20, 0
	s_cmp_eq_u32 s17, 0
	s_cbranch_scc1 .LBB2_470
; %bb.468:                              ;   in Loop: Header=BB2_438 Depth=1
	s_mov_b64 s[12:13], 0
	s_mov_b64 s[14:15], 0
.LBB2_469:                              ;   Parent Loop BB2_438 Depth=1
                                        ; =>  This Inner Loop Header: Depth=2
	s_wait_alu 0xfffe
	s_add_nc_u64 s[18:19], s[2:3], s[14:15]
	s_add_nc_u64 s[14:15], s[14:15], 1
	global_load_u8 v0, v10, s[18:19]
	s_wait_alu 0xfffe
	s_cmp_lg_u32 s17, s14
	s_wait_loadcnt 0x0
	v_and_b32_e32 v9, 0xffff, v0
	s_delay_alu instid0(VALU_DEP_1) | instskip(SKIP_1) | instid1(VALU_DEP_1)
	v_lshlrev_b64_e32 v[0:1], s12, v[9:10]
	s_add_nc_u64 s[12:13], s[12:13], 8
	v_or_b32_e32 v19, v0, v19
	s_delay_alu instid0(VALU_DEP_2)
	v_or_b32_e32 v20, v1, v20
	s_cbranch_scc1 .LBB2_469
.LBB2_470:                              ;   in Loop: Header=BB2_438 Depth=1
	s_mov_b64 s[12:13], s[2:3]
	s_mov_b32 s16, 0
	s_cbranch_execz .LBB2_472
	s_branch .LBB2_473
.LBB2_471:                              ;   in Loop: Header=BB2_438 Depth=1
	s_add_nc_u64 s[12:13], s[2:3], 8
	s_mov_b32 s16, 0
.LBB2_472:                              ;   in Loop: Header=BB2_438 Depth=1
	global_load_b64 v[19:20], v10, s[2:3]
	s_add_co_i32 s16, s17, -8
.LBB2_473:                              ;   in Loop: Header=BB2_438 Depth=1
	s_wait_alu 0xfffe
	s_cmp_gt_u32 s16, 7
	s_cbranch_scc1 .LBB2_478
; %bb.474:                              ;   in Loop: Header=BB2_438 Depth=1
	v_mov_b32_e32 v21, 0
	v_mov_b32_e32 v22, 0
	s_cmp_eq_u32 s16, 0
	s_cbranch_scc1 .LBB2_477
; %bb.475:                              ;   in Loop: Header=BB2_438 Depth=1
	s_mov_b64 s[2:3], 0
	s_mov_b64 s[14:15], 0
.LBB2_476:                              ;   Parent Loop BB2_438 Depth=1
                                        ; =>  This Inner Loop Header: Depth=2
	s_wait_alu 0xfffe
	s_add_nc_u64 s[18:19], s[12:13], s[14:15]
	s_add_nc_u64 s[14:15], s[14:15], 1
	global_load_u8 v0, v10, s[18:19]
	s_wait_alu 0xfffe
	s_cmp_lg_u32 s16, s14
	s_wait_loadcnt 0x0
	v_and_b32_e32 v9, 0xffff, v0
	s_delay_alu instid0(VALU_DEP_1) | instskip(SKIP_1) | instid1(VALU_DEP_1)
	v_lshlrev_b64_e32 v[0:1], s2, v[9:10]
	s_add_nc_u64 s[2:3], s[2:3], 8
	v_or_b32_e32 v21, v0, v21
	s_delay_alu instid0(VALU_DEP_2)
	v_or_b32_e32 v22, v1, v22
	s_cbranch_scc1 .LBB2_476
.LBB2_477:                              ;   in Loop: Header=BB2_438 Depth=1
	s_mov_b64 s[2:3], s[12:13]
	s_mov_b32 s17, 0
	s_cbranch_execz .LBB2_479
	s_branch .LBB2_480
.LBB2_478:                              ;   in Loop: Header=BB2_438 Depth=1
	s_add_nc_u64 s[2:3], s[12:13], 8
                                        ; implicit-def: $vgpr21_vgpr22
	s_mov_b32 s17, 0
.LBB2_479:                              ;   in Loop: Header=BB2_438 Depth=1
	global_load_b64 v[21:22], v10, s[12:13]
	s_add_co_i32 s17, s16, -8
.LBB2_480:                              ;   in Loop: Header=BB2_438 Depth=1
	s_wait_alu 0xfffe
	s_cmp_gt_u32 s17, 7
	s_cbranch_scc1 .LBB2_485
; %bb.481:                              ;   in Loop: Header=BB2_438 Depth=1
	v_mov_b32_e32 v23, 0
	v_mov_b32_e32 v24, 0
	s_cmp_eq_u32 s17, 0
	s_cbranch_scc1 .LBB2_484
; %bb.482:                              ;   in Loop: Header=BB2_438 Depth=1
	s_mov_b64 s[12:13], 0
	s_mov_b64 s[14:15], s[2:3]
.LBB2_483:                              ;   Parent Loop BB2_438 Depth=1
                                        ; =>  This Inner Loop Header: Depth=2
	global_load_u8 v0, v10, s[14:15]
	s_add_co_i32 s17, s17, -1
	s_wait_alu 0xfffe
	s_add_nc_u64 s[14:15], s[14:15], 1
	s_cmp_lg_u32 s17, 0
	s_wait_loadcnt 0x0
	v_and_b32_e32 v9, 0xffff, v0
	s_delay_alu instid0(VALU_DEP_1) | instskip(SKIP_1) | instid1(VALU_DEP_1)
	v_lshlrev_b64_e32 v[0:1], s12, v[9:10]
	s_add_nc_u64 s[12:13], s[12:13], 8
	v_or_b32_e32 v23, v0, v23
	s_delay_alu instid0(VALU_DEP_2)
	v_or_b32_e32 v24, v1, v24
	s_cbranch_scc1 .LBB2_483
.LBB2_484:                              ;   in Loop: Header=BB2_438 Depth=1
	s_cbranch_execz .LBB2_486
	s_branch .LBB2_487
.LBB2_485:                              ;   in Loop: Header=BB2_438 Depth=1
.LBB2_486:                              ;   in Loop: Header=BB2_438 Depth=1
	global_load_b64 v[23:24], v10, s[2:3]
.LBB2_487:                              ;   in Loop: Header=BB2_438 Depth=1
	v_readfirstlane_b32 s2, v33
	v_mov_b32_e32 v0, 0
	v_mov_b32_e32 v1, 0
	s_wait_alu 0xf1ff
	s_delay_alu instid0(VALU_DEP_3)
	v_cmp_eq_u32_e64 s2, s2, v33
	s_and_saveexec_b32 s3, s2
	s_cbranch_execz .LBB2_493
; %bb.488:                              ;   in Loop: Header=BB2_438 Depth=1
	global_load_b64 v[27:28], v10, s[4:5] offset:24 scope:SCOPE_SYS
	s_wait_loadcnt 0x0
	global_inv scope:SCOPE_SYS
	s_clause 0x1
	global_load_b64 v[0:1], v10, s[4:5] offset:40
	global_load_b64 v[25:26], v10, s[4:5]
	s_mov_b32 s12, exec_lo
	s_wait_loadcnt 0x1
	v_and_b32_e32 v1, v1, v28
	v_and_b32_e32 v0, v0, v27
	s_delay_alu instid0(VALU_DEP_2) | instskip(NEXT) | instid1(VALU_DEP_2)
	v_mul_lo_u32 v1, 24, v1
	v_mul_lo_u32 v9, 0, v0
	v_mul_hi_u32 v30, 24, v0
	v_mul_lo_u32 v0, 24, v0
	s_delay_alu instid0(VALU_DEP_3) | instskip(SKIP_1) | instid1(VALU_DEP_2)
	v_add_nc_u32_e32 v1, v1, v9
	s_wait_loadcnt 0x0
	v_add_co_u32 v0, vcc_lo, v25, v0
	s_delay_alu instid0(VALU_DEP_2) | instskip(SKIP_1) | instid1(VALU_DEP_1)
	v_add_nc_u32_e32 v1, v1, v30
	s_wait_alu 0xfffd
	v_add_co_ci_u32_e64 v1, null, v26, v1, vcc_lo
	global_load_b64 v[25:26], v[0:1], off scope:SCOPE_SYS
	s_wait_loadcnt 0x0
	global_atomic_cmpswap_b64 v[0:1], v10, v[25:28], s[4:5] offset:24 th:TH_ATOMIC_RETURN scope:SCOPE_SYS
	s_wait_loadcnt 0x0
	global_inv scope:SCOPE_SYS
	v_cmpx_ne_u64_e64 v[0:1], v[27:28]
	s_cbranch_execz .LBB2_492
; %bb.489:                              ;   in Loop: Header=BB2_438 Depth=1
	s_mov_b32 s13, 0
.LBB2_490:                              ;   Parent Loop BB2_438 Depth=1
                                        ; =>  This Inner Loop Header: Depth=2
	s_sleep 1
	s_clause 0x1
	global_load_b64 v[25:26], v10, s[4:5] offset:40
	global_load_b64 v[30:31], v10, s[4:5]
	v_dual_mov_b32 v28, v1 :: v_dual_mov_b32 v27, v0
	s_wait_loadcnt 0x1
	s_delay_alu instid0(VALU_DEP_1) | instskip(NEXT) | instid1(VALU_DEP_2)
	v_and_b32_e32 v0, v25, v27
	v_and_b32_e32 v9, v26, v28
	s_wait_loadcnt 0x0
	s_delay_alu instid0(VALU_DEP_2) | instskip(NEXT) | instid1(VALU_DEP_1)
	v_mad_co_u64_u32 v[0:1], null, v0, 24, v[30:31]
	v_mad_co_u64_u32 v[25:26], null, v9, 24, v[1:2]
	s_delay_alu instid0(VALU_DEP_1)
	v_mov_b32_e32 v1, v25
	global_load_b64 v[25:26], v[0:1], off scope:SCOPE_SYS
	s_wait_loadcnt 0x0
	global_atomic_cmpswap_b64 v[0:1], v10, v[25:28], s[4:5] offset:24 th:TH_ATOMIC_RETURN scope:SCOPE_SYS
	s_wait_loadcnt 0x0
	global_inv scope:SCOPE_SYS
	v_cmp_eq_u64_e32 vcc_lo, v[0:1], v[27:28]
	s_wait_alu 0xfffe
	s_or_b32 s13, vcc_lo, s13
	s_wait_alu 0xfffe
	s_and_not1_b32 exec_lo, exec_lo, s13
	s_cbranch_execnz .LBB2_490
; %bb.491:                              ;   in Loop: Header=BB2_438 Depth=1
	s_or_b32 exec_lo, exec_lo, s13
.LBB2_492:                              ;   in Loop: Header=BB2_438 Depth=1
	s_wait_alu 0xfffe
	s_or_b32 exec_lo, exec_lo, s12
.LBB2_493:                              ;   in Loop: Header=BB2_438 Depth=1
	s_wait_alu 0xfffe
	s_or_b32 exec_lo, exec_lo, s3
	s_clause 0x1
	global_load_b64 v[30:31], v10, s[4:5] offset:40
	global_load_b128 v[25:28], v10, s[4:5]
	v_readfirstlane_b32 s13, v1
	v_readfirstlane_b32 s12, v0
	s_mov_b32 s3, exec_lo
	s_wait_loadcnt 0x1
	s_wait_alu 0xf1ff
	v_and_b32_e32 v31, s13, v31
	v_and_b32_e32 v30, s12, v30
	s_delay_alu instid0(VALU_DEP_2) | instskip(NEXT) | instid1(VALU_DEP_2)
	v_mul_lo_u32 v0, 24, v31
	v_mul_lo_u32 v1, 0, v30
	v_mul_hi_u32 v9, 24, v30
	v_mul_lo_u32 v35, 24, v30
	s_delay_alu instid0(VALU_DEP_3) | instskip(NEXT) | instid1(VALU_DEP_1)
	v_add_nc_u32_e32 v0, v0, v1
	v_add_nc_u32_e32 v1, v0, v9
	s_wait_loadcnt 0x0
	s_delay_alu instid0(VALU_DEP_3) | instskip(SKIP_1) | instid1(VALU_DEP_2)
	v_add_co_u32 v0, vcc_lo, v25, v35
	s_wait_alu 0xfffd
	v_add_co_ci_u32_e64 v1, null, v26, v1, vcc_lo
	s_and_saveexec_b32 s14, s2
	s_cbranch_execz .LBB2_495
; %bb.494:                              ;   in Loop: Header=BB2_438 Depth=1
	s_wait_alu 0xfffe
	v_mov_b32_e32 v9, s3
	global_store_b128 v[0:1], v[9:12], off offset:8
.LBB2_495:                              ;   in Loop: Header=BB2_438 Depth=1
	s_wait_alu 0xfffe
	s_or_b32 exec_lo, exec_lo, s14
	v_cmp_lt_u64_e64 vcc_lo, s[6:7], 57
	v_lshlrev_b64_e32 v[30:31], 12, v[30:31]
	v_and_b32_e32 v5, 0xffffff1f, v5
	s_lshl_b32 s3, s10, 2
	s_wait_alu 0xfffe
	s_add_co_i32 s3, s3, 28
	s_wait_alu 0xfffd
	v_cndmask_b32_e32 v9, 0, v34, vcc_lo
	v_add_co_u32 v27, vcc_lo, v27, v30
	s_wait_alu 0xfffd
	v_add_co_ci_u32_e64 v28, null, v28, v31, vcc_lo
	s_delay_alu instid0(VALU_DEP_3) | instskip(NEXT) | instid1(VALU_DEP_3)
	v_or_b32_e32 v5, v5, v9
	v_readfirstlane_b32 s14, v27
	s_delay_alu instid0(VALU_DEP_3) | instskip(SKIP_1) | instid1(VALU_DEP_3)
	v_readfirstlane_b32 s15, v28
	s_wait_alu 0xfffe
	v_and_or_b32 v5, 0x1e0, s3, v5
	s_clause 0x3
	global_store_b128 v32, v[5:8], s[14:15]
	global_store_b128 v32, v[13:16], s[14:15] offset:16
	global_store_b128 v32, v[17:20], s[14:15] offset:32
	;; [unrolled: 1-line block ×3, first 2 shown]
	s_and_saveexec_b32 s3, s2
	s_cbranch_execz .LBB2_503
; %bb.496:                              ;   in Loop: Header=BB2_438 Depth=1
	s_clause 0x1
	global_load_b64 v[17:18], v10, s[4:5] offset:32 scope:SCOPE_SYS
	global_load_b64 v[5:6], v10, s[4:5] offset:40
	s_mov_b32 s14, exec_lo
	v_dual_mov_b32 v15, s12 :: v_dual_mov_b32 v16, s13
	s_wait_loadcnt 0x0
	v_and_b32_e32 v5, s12, v5
	v_and_b32_e32 v6, s13, v6
	s_delay_alu instid0(VALU_DEP_2) | instskip(NEXT) | instid1(VALU_DEP_2)
	v_mul_lo_u32 v7, 0, v5
	v_mul_lo_u32 v6, 24, v6
	v_mul_hi_u32 v8, 24, v5
	v_mul_lo_u32 v5, 24, v5
	s_delay_alu instid0(VALU_DEP_3) | instskip(NEXT) | instid1(VALU_DEP_2)
	v_add_nc_u32_e32 v6, v6, v7
	v_add_co_u32 v13, vcc_lo, v25, v5
	s_delay_alu instid0(VALU_DEP_2) | instskip(SKIP_1) | instid1(VALU_DEP_1)
	v_add_nc_u32_e32 v6, v6, v8
	s_wait_alu 0xfffd
	v_add_co_ci_u32_e64 v14, null, v26, v6, vcc_lo
	global_store_b64 v[13:14], v[17:18], off
	global_wb scope:SCOPE_SYS
	s_wait_storecnt 0x0
	global_atomic_cmpswap_b64 v[7:8], v10, v[15:18], s[4:5] offset:32 th:TH_ATOMIC_RETURN scope:SCOPE_SYS
	s_wait_loadcnt 0x0
	v_cmpx_ne_u64_e64 v[7:8], v[17:18]
	s_cbranch_execz .LBB2_499
; %bb.497:                              ;   in Loop: Header=BB2_438 Depth=1
	s_mov_b32 s15, 0
.LBB2_498:                              ;   Parent Loop BB2_438 Depth=1
                                        ; =>  This Inner Loop Header: Depth=2
	v_dual_mov_b32 v5, s12 :: v_dual_mov_b32 v6, s13
	s_sleep 1
	global_store_b64 v[13:14], v[7:8], off
	global_wb scope:SCOPE_SYS
	s_wait_storecnt 0x0
	global_atomic_cmpswap_b64 v[5:6], v10, v[5:8], s[4:5] offset:32 th:TH_ATOMIC_RETURN scope:SCOPE_SYS
	s_wait_loadcnt 0x0
	v_cmp_eq_u64_e32 vcc_lo, v[5:6], v[7:8]
	v_dual_mov_b32 v8, v6 :: v_dual_mov_b32 v7, v5
	s_wait_alu 0xfffe
	s_or_b32 s15, vcc_lo, s15
	s_wait_alu 0xfffe
	s_and_not1_b32 exec_lo, exec_lo, s15
	s_cbranch_execnz .LBB2_498
.LBB2_499:                              ;   in Loop: Header=BB2_438 Depth=1
	s_wait_alu 0xfffe
	s_or_b32 exec_lo, exec_lo, s14
	global_load_b64 v[5:6], v10, s[4:5] offset:16
	s_mov_b32 s15, exec_lo
	s_mov_b32 s14, exec_lo
	s_wait_alu 0xfffe
	v_mbcnt_lo_u32_b32 v7, s15, 0
	s_delay_alu instid0(VALU_DEP_1)
	v_cmpx_eq_u32_e32 0, v7
	s_cbranch_execz .LBB2_501
; %bb.500:                              ;   in Loop: Header=BB2_438 Depth=1
	s_bcnt1_i32_b32 s15, s15
	s_wait_alu 0xfffe
	v_mov_b32_e32 v9, s15
	global_wb scope:SCOPE_SYS
	s_wait_loadcnt 0x0
	s_wait_storecnt 0x0
	global_atomic_add_u64 v[5:6], v[9:10], off offset:8 scope:SCOPE_SYS
.LBB2_501:                              ;   in Loop: Header=BB2_438 Depth=1
	s_or_b32 exec_lo, exec_lo, s14
	s_wait_loadcnt 0x0
	global_load_b64 v[7:8], v[5:6], off offset:16
	s_wait_loadcnt 0x0
	v_cmp_eq_u64_e32 vcc_lo, 0, v[7:8]
	s_cbranch_vccnz .LBB2_503
; %bb.502:                              ;   in Loop: Header=BB2_438 Depth=1
	global_load_b32 v9, v[5:6], off offset:24
	s_wait_loadcnt 0x0
	v_readfirstlane_b32 s14, v9
	global_wb scope:SCOPE_SYS
	s_wait_storecnt 0x0
	global_store_b64 v[7:8], v[9:10], off scope:SCOPE_SYS
	s_and_b32 m0, s14, 0xffffff
	s_sendmsg sendmsg(MSG_INTERRUPT)
.LBB2_503:                              ;   in Loop: Header=BB2_438 Depth=1
	s_wait_alu 0xfffe
	s_or_b32 exec_lo, exec_lo, s3
	v_add_co_u32 v5, vcc_lo, v27, v32
	s_wait_alu 0xfffd
	v_add_co_ci_u32_e64 v6, null, 0, v28, vcc_lo
	s_branch .LBB2_507
.LBB2_504:                              ;   in Loop: Header=BB2_507 Depth=2
	s_wait_alu 0xfffe
	s_or_b32 exec_lo, exec_lo, s3
	s_delay_alu instid0(VALU_DEP_1)
	v_readfirstlane_b32 s3, v7
	s_cmp_eq_u32 s3, 0
	s_cbranch_scc1 .LBB2_506
; %bb.505:                              ;   in Loop: Header=BB2_507 Depth=2
	s_sleep 1
	s_cbranch_execnz .LBB2_507
	s_branch .LBB2_509
.LBB2_506:                              ;   in Loop: Header=BB2_438 Depth=1
	s_branch .LBB2_509
.LBB2_507:                              ;   Parent Loop BB2_438 Depth=1
                                        ; =>  This Inner Loop Header: Depth=2
	v_mov_b32_e32 v7, 1
	s_and_saveexec_b32 s3, s2
	s_cbranch_execz .LBB2_504
; %bb.508:                              ;   in Loop: Header=BB2_507 Depth=2
	global_load_b32 v7, v[0:1], off offset:20 scope:SCOPE_SYS
	s_wait_loadcnt 0x0
	global_inv scope:SCOPE_SYS
	v_and_b32_e32 v7, 1, v7
	s_branch .LBB2_504
.LBB2_509:                              ;   in Loop: Header=BB2_438 Depth=1
	global_load_b64 v[5:6], v[5:6], off
	s_and_saveexec_b32 s14, s2
	s_cbranch_execz .LBB2_437
; %bb.510:                              ;   in Loop: Header=BB2_438 Depth=1
	s_clause 0x2
	global_load_b64 v[0:1], v10, s[4:5] offset:40
	global_load_b64 v[17:18], v10, s[4:5] offset:24 scope:SCOPE_SYS
	global_load_b64 v[7:8], v10, s[4:5]
	s_wait_loadcnt 0x2
	v_readfirstlane_b32 s16, v0
	v_readfirstlane_b32 s17, v1
	s_add_nc_u64 s[2:3], s[16:17], 1
	s_wait_alu 0xfffe
	s_add_nc_u64 s[12:13], s[2:3], s[12:13]
	s_wait_alu 0xfffe
	s_cmp_eq_u64 s[12:13], 0
	s_cselect_b32 s3, s3, s13
	s_cselect_b32 s2, s2, s12
	s_wait_alu 0xfffe
	v_dual_mov_b32 v16, s3 :: v_dual_mov_b32 v15, s2
	s_and_b64 s[12:13], s[2:3], s[16:17]
	s_wait_alu 0xfffe
	s_mul_u64 s[12:13], s[12:13], 24
	s_wait_loadcnt 0x0
	s_wait_alu 0xfffe
	v_add_co_u32 v0, vcc_lo, v7, s12
	s_wait_alu 0xfffd
	v_add_co_ci_u32_e64 v1, null, s13, v8, vcc_lo
	global_store_b64 v[0:1], v[17:18], off
	global_wb scope:SCOPE_SYS
	s_wait_storecnt 0x0
	global_atomic_cmpswap_b64 v[15:16], v10, v[15:18], s[4:5] offset:24 th:TH_ATOMIC_RETURN scope:SCOPE_SYS
	s_wait_loadcnt 0x0
	v_cmp_ne_u64_e32 vcc_lo, v[15:16], v[17:18]
	s_and_b32 exec_lo, exec_lo, vcc_lo
	s_cbranch_execz .LBB2_437
; %bb.511:                              ;   in Loop: Header=BB2_438 Depth=1
	s_mov_b32 s12, 0
.LBB2_512:                              ;   Parent Loop BB2_438 Depth=1
                                        ; =>  This Inner Loop Header: Depth=2
	v_dual_mov_b32 v13, s2 :: v_dual_mov_b32 v14, s3
	s_sleep 1
	global_store_b64 v[0:1], v[15:16], off
	global_wb scope:SCOPE_SYS
	s_wait_storecnt 0x0
	global_atomic_cmpswap_b64 v[7:8], v10, v[13:16], s[4:5] offset:24 th:TH_ATOMIC_RETURN scope:SCOPE_SYS
	s_wait_loadcnt 0x0
	v_cmp_eq_u64_e32 vcc_lo, v[7:8], v[15:16]
	v_dual_mov_b32 v16, v8 :: v_dual_mov_b32 v15, v7
	s_wait_alu 0xfffe
	s_or_b32 s12, vcc_lo, s12
	s_wait_alu 0xfffe
	s_and_not1_b32 exec_lo, exec_lo, s12
	s_cbranch_execnz .LBB2_512
	s_branch .LBB2_437
.LBB2_513:
	s_branch .LBB2_542
.LBB2_514:
                                        ; implicit-def: $vgpr5_vgpr6
	s_cbranch_execz .LBB2_542
; %bb.515:
	v_readfirstlane_b32 s2, v33
	v_mov_b32_e32 v0, 0
	v_mov_b32_e32 v1, 0
	s_wait_alu 0xf1ff
	s_delay_alu instid0(VALU_DEP_3)
	v_cmp_eq_u32_e64 s2, s2, v33
	s_and_saveexec_b32 s3, s2
	s_cbranch_execz .LBB2_521
; %bb.516:
	s_wait_loadcnt 0x0
	v_mov_b32_e32 v5, 0
	s_mov_b32 s6, exec_lo
	global_load_b64 v[8:9], v5, s[4:5] offset:24 scope:SCOPE_SYS
	s_wait_loadcnt 0x0
	global_inv scope:SCOPE_SYS
	s_clause 0x1
	global_load_b64 v[0:1], v5, s[4:5] offset:40
	global_load_b64 v[6:7], v5, s[4:5]
	s_wait_loadcnt 0x1
	v_and_b32_e32 v1, v1, v9
	v_and_b32_e32 v0, v0, v8
	s_delay_alu instid0(VALU_DEP_2) | instskip(NEXT) | instid1(VALU_DEP_2)
	v_mul_lo_u32 v1, 24, v1
	v_mul_lo_u32 v10, 0, v0
	v_mul_hi_u32 v11, 24, v0
	v_mul_lo_u32 v0, 24, v0
	s_delay_alu instid0(VALU_DEP_3) | instskip(SKIP_1) | instid1(VALU_DEP_2)
	v_add_nc_u32_e32 v1, v1, v10
	s_wait_loadcnt 0x0
	v_add_co_u32 v0, vcc_lo, v6, v0
	s_delay_alu instid0(VALU_DEP_2) | instskip(SKIP_1) | instid1(VALU_DEP_1)
	v_add_nc_u32_e32 v1, v1, v11
	s_wait_alu 0xfffd
	v_add_co_ci_u32_e64 v1, null, v7, v1, vcc_lo
	global_load_b64 v[6:7], v[0:1], off scope:SCOPE_SYS
	s_wait_loadcnt 0x0
	global_atomic_cmpswap_b64 v[0:1], v5, v[6:9], s[4:5] offset:24 th:TH_ATOMIC_RETURN scope:SCOPE_SYS
	s_wait_loadcnt 0x0
	global_inv scope:SCOPE_SYS
	v_cmpx_ne_u64_e64 v[0:1], v[8:9]
	s_cbranch_execz .LBB2_520
; %bb.517:
	s_mov_b32 s7, 0
.LBB2_518:                              ; =>This Inner Loop Header: Depth=1
	s_sleep 1
	s_clause 0x1
	global_load_b64 v[6:7], v5, s[4:5] offset:40
	global_load_b64 v[10:11], v5, s[4:5]
	v_dual_mov_b32 v9, v1 :: v_dual_mov_b32 v8, v0
	s_wait_loadcnt 0x1
	s_delay_alu instid0(VALU_DEP_1) | instskip(NEXT) | instid1(VALU_DEP_2)
	v_and_b32_e32 v0, v6, v8
	v_and_b32_e32 v6, v7, v9
	s_wait_loadcnt 0x0
	s_delay_alu instid0(VALU_DEP_2) | instskip(NEXT) | instid1(VALU_DEP_1)
	v_mad_co_u64_u32 v[0:1], null, v0, 24, v[10:11]
	v_mad_co_u64_u32 v[6:7], null, v6, 24, v[1:2]
	s_delay_alu instid0(VALU_DEP_1)
	v_mov_b32_e32 v1, v6
	global_load_b64 v[6:7], v[0:1], off scope:SCOPE_SYS
	s_wait_loadcnt 0x0
	global_atomic_cmpswap_b64 v[0:1], v5, v[6:9], s[4:5] offset:24 th:TH_ATOMIC_RETURN scope:SCOPE_SYS
	s_wait_loadcnt 0x0
	global_inv scope:SCOPE_SYS
	v_cmp_eq_u64_e32 vcc_lo, v[0:1], v[8:9]
	s_wait_alu 0xfffe
	s_or_b32 s7, vcc_lo, s7
	s_wait_alu 0xfffe
	s_and_not1_b32 exec_lo, exec_lo, s7
	s_cbranch_execnz .LBB2_518
; %bb.519:
	s_or_b32 exec_lo, exec_lo, s7
.LBB2_520:
	s_wait_alu 0xfffe
	s_or_b32 exec_lo, exec_lo, s6
.LBB2_521:
	s_wait_alu 0xfffe
	s_or_b32 exec_lo, exec_lo, s3
	v_readfirstlane_b32 s7, v1
	s_wait_loadcnt 0x0
	v_mov_b32_e32 v5, 0
	v_readfirstlane_b32 s6, v0
	s_mov_b32 s3, exec_lo
	s_clause 0x1
	global_load_b64 v[11:12], v5, s[4:5] offset:40
	global_load_b128 v[7:10], v5, s[4:5]
	s_wait_loadcnt 0x1
	s_wait_alu 0xf1ff
	v_and_b32_e32 v12, s7, v12
	v_and_b32_e32 v11, s6, v11
	s_delay_alu instid0(VALU_DEP_2) | instskip(NEXT) | instid1(VALU_DEP_2)
	v_mul_lo_u32 v0, 24, v12
	v_mul_lo_u32 v1, 0, v11
	v_mul_hi_u32 v6, 24, v11
	v_mul_lo_u32 v13, 24, v11
	s_delay_alu instid0(VALU_DEP_3) | instskip(NEXT) | instid1(VALU_DEP_1)
	v_add_nc_u32_e32 v0, v0, v1
	v_add_nc_u32_e32 v1, v0, v6
	s_wait_loadcnt 0x0
	s_delay_alu instid0(VALU_DEP_3) | instskip(SKIP_1) | instid1(VALU_DEP_2)
	v_add_co_u32 v0, vcc_lo, v7, v13
	s_wait_alu 0xfffd
	v_add_co_ci_u32_e64 v1, null, v8, v1, vcc_lo
	s_and_saveexec_b32 s8, s2
	s_cbranch_execz .LBB2_523
; %bb.522:
	s_wait_alu 0xfffe
	v_dual_mov_b32 v13, s3 :: v_dual_mov_b32 v14, v5
	v_dual_mov_b32 v15, 2 :: v_dual_mov_b32 v16, 1
	global_store_b128 v[0:1], v[13:16], off offset:8
.LBB2_523:
	s_wait_alu 0xfffe
	s_or_b32 exec_lo, exec_lo, s8
	v_lshlrev_b64_e32 v[11:12], 12, v[11:12]
	s_mov_b32 s8, 0
	v_and_or_b32 v3, 0xffffff1f, v3, 32
	s_wait_alu 0xfffe
	s_mov_b32 s11, s8
	s_mov_b32 s9, s8
	s_mov_b32 s10, s8
	v_add_co_u32 v9, vcc_lo, v9, v11
	s_wait_alu 0xfffd
	v_add_co_ci_u32_e64 v10, null, v10, v12, vcc_lo
	v_mov_b32_e32 v6, v5
	s_delay_alu instid0(VALU_DEP_3) | instskip(SKIP_1) | instid1(VALU_DEP_4)
	v_readfirstlane_b32 s12, v9
	v_add_co_u32 v9, vcc_lo, v9, v32
	v_readfirstlane_b32 s13, v10
	s_wait_alu 0xfffe
	v_dual_mov_b32 v14, s11 :: v_dual_mov_b32 v11, s8
	s_wait_alu 0xfffd
	v_add_co_ci_u32_e64 v10, null, 0, v10, vcc_lo
	v_dual_mov_b32 v13, s10 :: v_dual_mov_b32 v12, s9
	s_clause 0x3
	global_store_b128 v32, v[3:6], s[12:13]
	global_store_b128 v32, v[11:14], s[12:13] offset:16
	global_store_b128 v32, v[11:14], s[12:13] offset:32
	;; [unrolled: 1-line block ×3, first 2 shown]
	s_and_saveexec_b32 s3, s2
	s_cbranch_execz .LBB2_531
; %bb.524:
	v_mov_b32_e32 v11, 0
	s_mov_b32 s8, exec_lo
	s_clause 0x1
	global_load_b64 v[14:15], v11, s[4:5] offset:32 scope:SCOPE_SYS
	global_load_b64 v[3:4], v11, s[4:5] offset:40
	v_dual_mov_b32 v12, s6 :: v_dual_mov_b32 v13, s7
	s_wait_loadcnt 0x0
	v_and_b32_e32 v4, s7, v4
	v_and_b32_e32 v3, s6, v3
	s_delay_alu instid0(VALU_DEP_2) | instskip(NEXT) | instid1(VALU_DEP_2)
	v_mul_lo_u32 v4, 24, v4
	v_mul_lo_u32 v5, 0, v3
	v_mul_hi_u32 v6, 24, v3
	v_mul_lo_u32 v3, 24, v3
	s_delay_alu instid0(VALU_DEP_3) | instskip(NEXT) | instid1(VALU_DEP_2)
	v_add_nc_u32_e32 v4, v4, v5
	v_add_co_u32 v7, vcc_lo, v7, v3
	s_delay_alu instid0(VALU_DEP_2) | instskip(SKIP_1) | instid1(VALU_DEP_1)
	v_add_nc_u32_e32 v4, v4, v6
	s_wait_alu 0xfffd
	v_add_co_ci_u32_e64 v8, null, v8, v4, vcc_lo
	global_store_b64 v[7:8], v[14:15], off
	global_wb scope:SCOPE_SYS
	s_wait_storecnt 0x0
	global_atomic_cmpswap_b64 v[5:6], v11, v[12:15], s[4:5] offset:32 th:TH_ATOMIC_RETURN scope:SCOPE_SYS
	s_wait_loadcnt 0x0
	v_cmpx_ne_u64_e64 v[5:6], v[14:15]
	s_cbranch_execz .LBB2_527
; %bb.525:
	s_mov_b32 s9, 0
.LBB2_526:                              ; =>This Inner Loop Header: Depth=1
	v_dual_mov_b32 v3, s6 :: v_dual_mov_b32 v4, s7
	s_sleep 1
	global_store_b64 v[7:8], v[5:6], off
	global_wb scope:SCOPE_SYS
	s_wait_storecnt 0x0
	global_atomic_cmpswap_b64 v[3:4], v11, v[3:6], s[4:5] offset:32 th:TH_ATOMIC_RETURN scope:SCOPE_SYS
	s_wait_loadcnt 0x0
	v_cmp_eq_u64_e32 vcc_lo, v[3:4], v[5:6]
	v_dual_mov_b32 v6, v4 :: v_dual_mov_b32 v5, v3
	s_wait_alu 0xfffe
	s_or_b32 s9, vcc_lo, s9
	s_wait_alu 0xfffe
	s_and_not1_b32 exec_lo, exec_lo, s9
	s_cbranch_execnz .LBB2_526
.LBB2_527:
	s_wait_alu 0xfffe
	s_or_b32 exec_lo, exec_lo, s8
	v_mov_b32_e32 v6, 0
	s_mov_b32 s9, exec_lo
	s_mov_b32 s8, exec_lo
	s_wait_alu 0xfffe
	v_mbcnt_lo_u32_b32 v5, s9, 0
	global_load_b64 v[3:4], v6, s[4:5] offset:16
	v_cmpx_eq_u32_e32 0, v5
	s_cbranch_execz .LBB2_529
; %bb.528:
	s_bcnt1_i32_b32 s9, s9
	s_wait_alu 0xfffe
	v_mov_b32_e32 v5, s9
	global_wb scope:SCOPE_SYS
	s_wait_loadcnt 0x0
	s_wait_storecnt 0x0
	global_atomic_add_u64 v[3:4], v[5:6], off offset:8 scope:SCOPE_SYS
.LBB2_529:
	s_or_b32 exec_lo, exec_lo, s8
	s_wait_loadcnt 0x0
	global_load_b64 v[5:6], v[3:4], off offset:16
	s_wait_loadcnt 0x0
	v_cmp_eq_u64_e32 vcc_lo, 0, v[5:6]
	s_cbranch_vccnz .LBB2_531
; %bb.530:
	global_load_b32 v3, v[3:4], off offset:24
	v_mov_b32_e32 v4, 0
	s_wait_loadcnt 0x0
	v_readfirstlane_b32 s8, v3
	global_wb scope:SCOPE_SYS
	s_wait_storecnt 0x0
	global_store_b64 v[5:6], v[3:4], off scope:SCOPE_SYS
	s_and_b32 m0, s8, 0xffffff
	s_sendmsg sendmsg(MSG_INTERRUPT)
.LBB2_531:
	s_wait_alu 0xfffe
	s_or_b32 exec_lo, exec_lo, s3
	s_branch .LBB2_535
.LBB2_532:                              ;   in Loop: Header=BB2_535 Depth=1
	s_wait_alu 0xfffe
	s_or_b32 exec_lo, exec_lo, s3
	s_delay_alu instid0(VALU_DEP_1)
	v_readfirstlane_b32 s3, v3
	s_cmp_eq_u32 s3, 0
	s_cbranch_scc1 .LBB2_534
; %bb.533:                              ;   in Loop: Header=BB2_535 Depth=1
	s_sleep 1
	s_cbranch_execnz .LBB2_535
	s_branch .LBB2_537
.LBB2_534:
	s_branch .LBB2_537
.LBB2_535:                              ; =>This Inner Loop Header: Depth=1
	v_mov_b32_e32 v3, 1
	s_and_saveexec_b32 s3, s2
	s_cbranch_execz .LBB2_532
; %bb.536:                              ;   in Loop: Header=BB2_535 Depth=1
	global_load_b32 v3, v[0:1], off offset:20 scope:SCOPE_SYS
	s_wait_loadcnt 0x0
	global_inv scope:SCOPE_SYS
	v_and_b32_e32 v3, 1, v3
	s_branch .LBB2_532
.LBB2_537:
	global_load_b64 v[5:6], v[9:10], off
	s_and_saveexec_b32 s8, s2
	s_cbranch_execz .LBB2_541
; %bb.538:
	v_mov_b32_e32 v3, 0
	s_clause 0x2
	global_load_b64 v[0:1], v3, s[4:5] offset:40
	global_load_b64 v[11:12], v3, s[4:5] offset:24 scope:SCOPE_SYS
	global_load_b64 v[7:8], v3, s[4:5]
	s_wait_loadcnt 0x2
	v_readfirstlane_b32 s10, v0
	v_readfirstlane_b32 s11, v1
	s_add_nc_u64 s[2:3], s[10:11], 1
	s_wait_alu 0xfffe
	s_add_nc_u64 s[6:7], s[2:3], s[6:7]
	s_wait_alu 0xfffe
	s_cmp_eq_u64 s[6:7], 0
	s_cselect_b32 s3, s3, s7
	s_cselect_b32 s2, s2, s6
	s_wait_alu 0xfffe
	v_mov_b32_e32 v10, s3
	s_and_b64 s[6:7], s[2:3], s[10:11]
	v_mov_b32_e32 v9, s2
	s_wait_alu 0xfffe
	s_mul_u64 s[6:7], s[6:7], 24
	s_wait_loadcnt 0x0
	s_wait_alu 0xfffe
	v_add_co_u32 v0, vcc_lo, v7, s6
	s_wait_alu 0xfffd
	v_add_co_ci_u32_e64 v1, null, s7, v8, vcc_lo
	global_store_b64 v[0:1], v[11:12], off
	global_wb scope:SCOPE_SYS
	s_wait_storecnt 0x0
	global_atomic_cmpswap_b64 v[9:10], v3, v[9:12], s[4:5] offset:24 th:TH_ATOMIC_RETURN scope:SCOPE_SYS
	s_wait_loadcnt 0x0
	v_cmp_ne_u64_e32 vcc_lo, v[9:10], v[11:12]
	s_and_b32 exec_lo, exec_lo, vcc_lo
	s_cbranch_execz .LBB2_541
; %bb.539:
	s_mov_b32 s6, 0
.LBB2_540:                              ; =>This Inner Loop Header: Depth=1
	v_dual_mov_b32 v7, s2 :: v_dual_mov_b32 v8, s3
	s_sleep 1
	global_store_b64 v[0:1], v[9:10], off
	global_wb scope:SCOPE_SYS
	s_wait_storecnt 0x0
	global_atomic_cmpswap_b64 v[7:8], v3, v[7:10], s[4:5] offset:24 th:TH_ATOMIC_RETURN scope:SCOPE_SYS
	s_wait_loadcnt 0x0
	v_cmp_eq_u64_e32 vcc_lo, v[7:8], v[9:10]
	v_dual_mov_b32 v10, v8 :: v_dual_mov_b32 v9, v7
	s_wait_alu 0xfffe
	s_or_b32 s6, vcc_lo, s6
	s_wait_alu 0xfffe
	s_and_not1_b32 exec_lo, exec_lo, s6
	s_cbranch_execnz .LBB2_540
.LBB2_541:
	s_wait_alu 0xfffe
	s_or_b32 exec_lo, exec_lo, s8
.LBB2_542:
	v_readfirstlane_b32 s2, v33
	v_mov_b32_e32 v0, 0
	v_mov_b32_e32 v1, 0
	s_wait_alu 0xf1ff
	s_delay_alu instid0(VALU_DEP_3)
	v_cmp_eq_u32_e64 s2, s2, v33
	s_and_saveexec_b32 s3, s2
	s_cbranch_execz .LBB2_548
; %bb.543:
	s_wait_loadcnt 0x0
	v_mov_b32_e32 v3, 0
	s_mov_b32 s6, exec_lo
	global_load_b64 v[9:10], v3, s[4:5] offset:24 scope:SCOPE_SYS
	s_wait_loadcnt 0x0
	global_inv scope:SCOPE_SYS
	s_clause 0x1
	global_load_b64 v[0:1], v3, s[4:5] offset:40
	global_load_b64 v[7:8], v3, s[4:5]
	s_wait_loadcnt 0x1
	v_and_b32_e32 v1, v1, v10
	v_and_b32_e32 v0, v0, v9
	s_delay_alu instid0(VALU_DEP_2) | instskip(NEXT) | instid1(VALU_DEP_2)
	v_mul_lo_u32 v1, 24, v1
	v_mul_lo_u32 v4, 0, v0
	v_mul_hi_u32 v11, 24, v0
	v_mul_lo_u32 v0, 24, v0
	s_delay_alu instid0(VALU_DEP_3) | instskip(SKIP_1) | instid1(VALU_DEP_2)
	v_add_nc_u32_e32 v1, v1, v4
	s_wait_loadcnt 0x0
	v_add_co_u32 v0, vcc_lo, v7, v0
	s_delay_alu instid0(VALU_DEP_2) | instskip(SKIP_1) | instid1(VALU_DEP_1)
	v_add_nc_u32_e32 v1, v1, v11
	s_wait_alu 0xfffd
	v_add_co_ci_u32_e64 v1, null, v8, v1, vcc_lo
	global_load_b64 v[7:8], v[0:1], off scope:SCOPE_SYS
	s_wait_loadcnt 0x0
	global_atomic_cmpswap_b64 v[0:1], v3, v[7:10], s[4:5] offset:24 th:TH_ATOMIC_RETURN scope:SCOPE_SYS
	s_wait_loadcnt 0x0
	global_inv scope:SCOPE_SYS
	v_cmpx_ne_u64_e64 v[0:1], v[9:10]
	s_cbranch_execz .LBB2_547
; %bb.544:
	s_mov_b32 s7, 0
.LBB2_545:                              ; =>This Inner Loop Header: Depth=1
	s_sleep 1
	s_clause 0x1
	global_load_b64 v[7:8], v3, s[4:5] offset:40
	global_load_b64 v[11:12], v3, s[4:5]
	v_dual_mov_b32 v10, v1 :: v_dual_mov_b32 v9, v0
	s_wait_loadcnt 0x1
	s_delay_alu instid0(VALU_DEP_1) | instskip(NEXT) | instid1(VALU_DEP_2)
	v_and_b32_e32 v0, v7, v9
	v_and_b32_e32 v4, v8, v10
	s_wait_loadcnt 0x0
	s_delay_alu instid0(VALU_DEP_2) | instskip(NEXT) | instid1(VALU_DEP_1)
	v_mad_co_u64_u32 v[0:1], null, v0, 24, v[11:12]
	v_mad_co_u64_u32 v[7:8], null, v4, 24, v[1:2]
	s_delay_alu instid0(VALU_DEP_1)
	v_mov_b32_e32 v1, v7
	global_load_b64 v[7:8], v[0:1], off scope:SCOPE_SYS
	s_wait_loadcnt 0x0
	global_atomic_cmpswap_b64 v[0:1], v3, v[7:10], s[4:5] offset:24 th:TH_ATOMIC_RETURN scope:SCOPE_SYS
	s_wait_loadcnt 0x0
	global_inv scope:SCOPE_SYS
	v_cmp_eq_u64_e32 vcc_lo, v[0:1], v[9:10]
	s_wait_alu 0xfffe
	s_or_b32 s7, vcc_lo, s7
	s_wait_alu 0xfffe
	s_and_not1_b32 exec_lo, exec_lo, s7
	s_cbranch_execnz .LBB2_545
; %bb.546:
	s_or_b32 exec_lo, exec_lo, s7
.LBB2_547:
	s_wait_alu 0xfffe
	s_or_b32 exec_lo, exec_lo, s6
.LBB2_548:
	s_wait_alu 0xfffe
	s_or_b32 exec_lo, exec_lo, s3
	v_readfirstlane_b32 s6, v0
	v_mov_b32_e32 v8, 0
	v_readfirstlane_b32 s7, v1
	s_mov_b32 s3, exec_lo
	s_wait_loadcnt 0x0
	s_clause 0x1
	global_load_b64 v[3:4], v8, s[4:5] offset:40
	global_load_b128 v[9:12], v8, s[4:5]
	s_wait_loadcnt 0x1
	s_wait_alu 0xf1ff
	v_and_b32_e32 v4, s7, v4
	v_and_b32_e32 v3, s6, v3
	s_delay_alu instid0(VALU_DEP_2) | instskip(NEXT) | instid1(VALU_DEP_2)
	v_mul_lo_u32 v0, 24, v4
	v_mul_lo_u32 v1, 0, v3
	v_mul_hi_u32 v7, 24, v3
	v_mul_lo_u32 v13, 24, v3
	s_delay_alu instid0(VALU_DEP_3) | instskip(NEXT) | instid1(VALU_DEP_1)
	v_add_nc_u32_e32 v0, v0, v1
	v_add_nc_u32_e32 v1, v0, v7
	s_wait_loadcnt 0x0
	s_delay_alu instid0(VALU_DEP_3) | instskip(SKIP_1) | instid1(VALU_DEP_2)
	v_add_co_u32 v0, vcc_lo, v9, v13
	s_wait_alu 0xfffd
	v_add_co_ci_u32_e64 v1, null, v10, v1, vcc_lo
	s_and_saveexec_b32 s8, s2
	s_cbranch_execz .LBB2_550
; %bb.549:
	s_wait_alu 0xfffe
	v_dual_mov_b32 v7, s3 :: v_dual_mov_b32 v16, 1
	v_dual_mov_b32 v15, 2 :: v_dual_mov_b32 v14, v8
	s_delay_alu instid0(VALU_DEP_2)
	v_mov_b32_e32 v13, v7
	global_store_b128 v[0:1], v[13:16], off offset:8
.LBB2_550:
	s_wait_alu 0xfffe
	s_or_b32 exec_lo, exec_lo, s8
	v_lshlrev_b64_e32 v[3:4], 12, v[3:4]
	s_mov_b32 s8, 0
	v_and_or_b32 v5, 0xffffff1f, v5, 32
	s_wait_alu 0xfffe
	s_mov_b32 s11, s8
	s_mov_b32 s9, s8
	;; [unrolled: 1-line block ×3, first 2 shown]
	v_add_co_u32 v3, vcc_lo, v11, v3
	s_wait_alu 0xfffd
	v_add_co_ci_u32_e64 v4, null, v12, v4, vcc_lo
	s_wait_alu 0xfffe
	v_dual_mov_b32 v7, 1 :: v_dual_mov_b32 v16, s11
	v_add_co_u32 v11, vcc_lo, v3, v32
	v_readfirstlane_b32 s12, v3
	v_readfirstlane_b32 s13, v4
	s_wait_alu 0xfffd
	v_add_co_ci_u32_e64 v12, null, 0, v4, vcc_lo
	v_dual_mov_b32 v15, s10 :: v_dual_mov_b32 v14, s9
	v_mov_b32_e32 v13, s8
	s_clause 0x3
	global_store_b128 v32, v[5:8], s[12:13]
	global_store_b128 v32, v[13:16], s[12:13] offset:16
	global_store_b128 v32, v[13:16], s[12:13] offset:32
	;; [unrolled: 1-line block ×3, first 2 shown]
	s_and_saveexec_b32 s3, s2
	s_cbranch_execz .LBB2_558
; %bb.551:
	v_mov_b32_e32 v13, 0
	s_mov_b32 s8, exec_lo
	s_clause 0x1
	global_load_b64 v[16:17], v13, s[4:5] offset:32 scope:SCOPE_SYS
	global_load_b64 v[3:4], v13, s[4:5] offset:40
	v_dual_mov_b32 v14, s6 :: v_dual_mov_b32 v15, s7
	s_wait_loadcnt 0x0
	v_and_b32_e32 v4, s7, v4
	v_and_b32_e32 v3, s6, v3
	s_delay_alu instid0(VALU_DEP_2) | instskip(NEXT) | instid1(VALU_DEP_2)
	v_mul_lo_u32 v4, 24, v4
	v_mul_lo_u32 v5, 0, v3
	v_mul_hi_u32 v6, 24, v3
	v_mul_lo_u32 v3, 24, v3
	s_delay_alu instid0(VALU_DEP_3) | instskip(NEXT) | instid1(VALU_DEP_2)
	v_add_nc_u32_e32 v4, v4, v5
	v_add_co_u32 v7, vcc_lo, v9, v3
	s_delay_alu instid0(VALU_DEP_2) | instskip(SKIP_1) | instid1(VALU_DEP_1)
	v_add_nc_u32_e32 v4, v4, v6
	s_wait_alu 0xfffd
	v_add_co_ci_u32_e64 v8, null, v10, v4, vcc_lo
	global_store_b64 v[7:8], v[16:17], off
	global_wb scope:SCOPE_SYS
	s_wait_storecnt 0x0
	global_atomic_cmpswap_b64 v[5:6], v13, v[14:17], s[4:5] offset:32 th:TH_ATOMIC_RETURN scope:SCOPE_SYS
	s_wait_loadcnt 0x0
	v_cmpx_ne_u64_e64 v[5:6], v[16:17]
	s_cbranch_execz .LBB2_554
; %bb.552:
	s_mov_b32 s9, 0
.LBB2_553:                              ; =>This Inner Loop Header: Depth=1
	v_dual_mov_b32 v3, s6 :: v_dual_mov_b32 v4, s7
	s_sleep 1
	global_store_b64 v[7:8], v[5:6], off
	global_wb scope:SCOPE_SYS
	s_wait_storecnt 0x0
	global_atomic_cmpswap_b64 v[3:4], v13, v[3:6], s[4:5] offset:32 th:TH_ATOMIC_RETURN scope:SCOPE_SYS
	s_wait_loadcnt 0x0
	v_cmp_eq_u64_e32 vcc_lo, v[3:4], v[5:6]
	v_dual_mov_b32 v6, v4 :: v_dual_mov_b32 v5, v3
	s_wait_alu 0xfffe
	s_or_b32 s9, vcc_lo, s9
	s_wait_alu 0xfffe
	s_and_not1_b32 exec_lo, exec_lo, s9
	s_cbranch_execnz .LBB2_553
.LBB2_554:
	s_wait_alu 0xfffe
	s_or_b32 exec_lo, exec_lo, s8
	v_mov_b32_e32 v6, 0
	s_mov_b32 s9, exec_lo
	s_mov_b32 s8, exec_lo
	s_wait_alu 0xfffe
	v_mbcnt_lo_u32_b32 v5, s9, 0
	global_load_b64 v[3:4], v6, s[4:5] offset:16
	v_cmpx_eq_u32_e32 0, v5
	s_cbranch_execz .LBB2_556
; %bb.555:
	s_bcnt1_i32_b32 s9, s9
	s_wait_alu 0xfffe
	v_mov_b32_e32 v5, s9
	global_wb scope:SCOPE_SYS
	s_wait_loadcnt 0x0
	s_wait_storecnt 0x0
	global_atomic_add_u64 v[3:4], v[5:6], off offset:8 scope:SCOPE_SYS
.LBB2_556:
	s_or_b32 exec_lo, exec_lo, s8
	s_wait_loadcnt 0x0
	global_load_b64 v[5:6], v[3:4], off offset:16
	s_wait_loadcnt 0x0
	v_cmp_eq_u64_e32 vcc_lo, 0, v[5:6]
	s_cbranch_vccnz .LBB2_558
; %bb.557:
	global_load_b32 v3, v[3:4], off offset:24
	v_mov_b32_e32 v4, 0
	s_wait_loadcnt 0x0
	v_readfirstlane_b32 s8, v3
	global_wb scope:SCOPE_SYS
	s_wait_storecnt 0x0
	global_store_b64 v[5:6], v[3:4], off scope:SCOPE_SYS
	s_and_b32 m0, s8, 0xffffff
	s_sendmsg sendmsg(MSG_INTERRUPT)
.LBB2_558:
	s_wait_alu 0xfffe
	s_or_b32 exec_lo, exec_lo, s3
	s_branch .LBB2_562
.LBB2_559:                              ;   in Loop: Header=BB2_562 Depth=1
	s_wait_alu 0xfffe
	s_or_b32 exec_lo, exec_lo, s3
	s_delay_alu instid0(VALU_DEP_1)
	v_readfirstlane_b32 s3, v3
	s_cmp_eq_u32 s3, 0
	s_cbranch_scc1 .LBB2_561
; %bb.560:                              ;   in Loop: Header=BB2_562 Depth=1
	s_sleep 1
	s_cbranch_execnz .LBB2_562
	s_branch .LBB2_564
.LBB2_561:
	s_branch .LBB2_564
.LBB2_562:                              ; =>This Inner Loop Header: Depth=1
	v_mov_b32_e32 v3, 1
	s_and_saveexec_b32 s3, s2
	s_cbranch_execz .LBB2_559
; %bb.563:                              ;   in Loop: Header=BB2_562 Depth=1
	global_load_b32 v3, v[0:1], off offset:20 scope:SCOPE_SYS
	s_wait_loadcnt 0x0
	global_inv scope:SCOPE_SYS
	v_and_b32_e32 v3, 1, v3
	s_branch .LBB2_559
.LBB2_564:
	global_load_b64 v[0:1], v[11:12], off
	s_and_saveexec_b32 s8, s2
	s_cbranch_execz .LBB2_568
; %bb.565:
	v_mov_b32_e32 v9, 0
	s_clause 0x2
	global_load_b64 v[3:4], v9, s[4:5] offset:40
	global_load_b64 v[12:13], v9, s[4:5] offset:24 scope:SCOPE_SYS
	global_load_b64 v[5:6], v9, s[4:5]
	s_wait_loadcnt 0x2
	v_readfirstlane_b32 s10, v3
	v_readfirstlane_b32 s11, v4
	s_add_nc_u64 s[2:3], s[10:11], 1
	s_wait_alu 0xfffe
	s_add_nc_u64 s[6:7], s[2:3], s[6:7]
	s_wait_alu 0xfffe
	s_cmp_eq_u64 s[6:7], 0
	s_cselect_b32 s3, s3, s7
	s_cselect_b32 s2, s2, s6
	s_wait_alu 0xfffe
	v_mov_b32_e32 v11, s3
	s_and_b64 s[6:7], s[2:3], s[10:11]
	v_mov_b32_e32 v10, s2
	s_wait_alu 0xfffe
	s_mul_u64 s[6:7], s[6:7], 24
	s_wait_loadcnt 0x0
	s_wait_alu 0xfffe
	v_add_co_u32 v7, vcc_lo, v5, s6
	s_wait_alu 0xfffd
	v_add_co_ci_u32_e64 v8, null, s7, v6, vcc_lo
	global_store_b64 v[7:8], v[12:13], off
	global_wb scope:SCOPE_SYS
	s_wait_storecnt 0x0
	global_atomic_cmpswap_b64 v[5:6], v9, v[10:13], s[4:5] offset:24 th:TH_ATOMIC_RETURN scope:SCOPE_SYS
	s_wait_loadcnt 0x0
	v_cmp_ne_u64_e32 vcc_lo, v[5:6], v[12:13]
	s_and_b32 exec_lo, exec_lo, vcc_lo
	s_cbranch_execz .LBB2_568
; %bb.566:
	s_mov_b32 s6, 0
.LBB2_567:                              ; =>This Inner Loop Header: Depth=1
	v_dual_mov_b32 v3, s2 :: v_dual_mov_b32 v4, s3
	s_sleep 1
	global_store_b64 v[7:8], v[5:6], off
	global_wb scope:SCOPE_SYS
	s_wait_storecnt 0x0
	global_atomic_cmpswap_b64 v[3:4], v9, v[3:6], s[4:5] offset:24 th:TH_ATOMIC_RETURN scope:SCOPE_SYS
	s_wait_loadcnt 0x0
	v_cmp_eq_u64_e32 vcc_lo, v[3:4], v[5:6]
	v_dual_mov_b32 v6, v4 :: v_dual_mov_b32 v5, v3
	s_wait_alu 0xfffe
	s_or_b32 s6, vcc_lo, s6
	s_wait_alu 0xfffe
	s_and_not1_b32 exec_lo, exec_lo, s6
	s_cbranch_execnz .LBB2_567
.LBB2_568:
	s_wait_alu 0xfffe
	s_or_b32 exec_lo, exec_lo, s8
	v_readfirstlane_b32 s2, v33
	v_mov_b32_e32 v8, 0
	v_mov_b32_e32 v9, 0
	s_wait_alu 0xf1ff
	s_delay_alu instid0(VALU_DEP_3)
	v_cmp_eq_u32_e64 s2, s2, v33
	s_and_saveexec_b32 s3, s2
	s_cbranch_execz .LBB2_574
; %bb.569:
	v_mov_b32_e32 v3, 0
	s_mov_b32 s6, exec_lo
	global_load_b64 v[6:7], v3, s[4:5] offset:24 scope:SCOPE_SYS
	s_wait_loadcnt 0x0
	global_inv scope:SCOPE_SYS
	s_clause 0x1
	global_load_b64 v[4:5], v3, s[4:5] offset:40
	global_load_b64 v[8:9], v3, s[4:5]
	s_wait_loadcnt 0x1
	v_and_b32_e32 v5, v5, v7
	v_and_b32_e32 v4, v4, v6
	s_delay_alu instid0(VALU_DEP_2) | instskip(NEXT) | instid1(VALU_DEP_2)
	v_mul_lo_u32 v5, 24, v5
	v_mul_lo_u32 v10, 0, v4
	v_mul_hi_u32 v11, 24, v4
	v_mul_lo_u32 v4, 24, v4
	s_delay_alu instid0(VALU_DEP_3) | instskip(SKIP_1) | instid1(VALU_DEP_2)
	v_add_nc_u32_e32 v5, v5, v10
	s_wait_loadcnt 0x0
	v_add_co_u32 v4, vcc_lo, v8, v4
	s_delay_alu instid0(VALU_DEP_2) | instskip(SKIP_1) | instid1(VALU_DEP_1)
	v_add_nc_u32_e32 v5, v5, v11
	s_wait_alu 0xfffd
	v_add_co_ci_u32_e64 v5, null, v9, v5, vcc_lo
	global_load_b64 v[4:5], v[4:5], off scope:SCOPE_SYS
	s_wait_loadcnt 0x0
	global_atomic_cmpswap_b64 v[8:9], v3, v[4:7], s[4:5] offset:24 th:TH_ATOMIC_RETURN scope:SCOPE_SYS
	s_wait_loadcnt 0x0
	global_inv scope:SCOPE_SYS
	v_cmpx_ne_u64_e64 v[8:9], v[6:7]
	s_cbranch_execz .LBB2_573
; %bb.570:
	s_mov_b32 s7, 0
.LBB2_571:                              ; =>This Inner Loop Header: Depth=1
	s_sleep 1
	s_clause 0x1
	global_load_b64 v[4:5], v3, s[4:5] offset:40
	global_load_b64 v[10:11], v3, s[4:5]
	v_dual_mov_b32 v6, v8 :: v_dual_mov_b32 v7, v9
	s_wait_loadcnt 0x1
	s_delay_alu instid0(VALU_DEP_1) | instskip(NEXT) | instid1(VALU_DEP_2)
	v_and_b32_e32 v4, v4, v6
	v_and_b32_e32 v5, v5, v7
	s_wait_loadcnt 0x0
	s_delay_alu instid0(VALU_DEP_2) | instskip(NEXT) | instid1(VALU_DEP_1)
	v_mad_co_u64_u32 v[8:9], null, v4, 24, v[10:11]
	v_mov_b32_e32 v4, v9
	s_delay_alu instid0(VALU_DEP_1) | instskip(NEXT) | instid1(VALU_DEP_1)
	v_mad_co_u64_u32 v[4:5], null, v5, 24, v[4:5]
	v_mov_b32_e32 v9, v4
	global_load_b64 v[4:5], v[8:9], off scope:SCOPE_SYS
	s_wait_loadcnt 0x0
	global_atomic_cmpswap_b64 v[8:9], v3, v[4:7], s[4:5] offset:24 th:TH_ATOMIC_RETURN scope:SCOPE_SYS
	s_wait_loadcnt 0x0
	global_inv scope:SCOPE_SYS
	v_cmp_eq_u64_e32 vcc_lo, v[8:9], v[6:7]
	s_wait_alu 0xfffe
	s_or_b32 s7, vcc_lo, s7
	s_wait_alu 0xfffe
	s_and_not1_b32 exec_lo, exec_lo, s7
	s_cbranch_execnz .LBB2_571
; %bb.572:
	s_or_b32 exec_lo, exec_lo, s7
.LBB2_573:
	s_wait_alu 0xfffe
	s_or_b32 exec_lo, exec_lo, s6
.LBB2_574:
	s_wait_alu 0xfffe
	s_or_b32 exec_lo, exec_lo, s3
	v_readfirstlane_b32 s6, v8
	v_mov_b32_e32 v3, 0
	v_readfirstlane_b32 s7, v9
	s_mov_b32 s3, exec_lo
	s_clause 0x1
	global_load_b64 v[10:11], v3, s[4:5] offset:40
	global_load_b128 v[4:7], v3, s[4:5]
	s_wait_loadcnt 0x1
	s_wait_alu 0xf1ff
	v_and_b32_e32 v11, s7, v11
	v_and_b32_e32 v10, s6, v10
	s_delay_alu instid0(VALU_DEP_2) | instskip(NEXT) | instid1(VALU_DEP_2)
	v_mul_lo_u32 v8, 24, v11
	v_mul_lo_u32 v9, 0, v10
	v_mul_hi_u32 v12, 24, v10
	v_mul_lo_u32 v13, 24, v10
	s_delay_alu instid0(VALU_DEP_3) | instskip(NEXT) | instid1(VALU_DEP_1)
	v_add_nc_u32_e32 v8, v8, v9
	v_add_nc_u32_e32 v9, v8, v12
	s_wait_loadcnt 0x0
	s_delay_alu instid0(VALU_DEP_3) | instskip(SKIP_1) | instid1(VALU_DEP_2)
	v_add_co_u32 v8, vcc_lo, v4, v13
	s_wait_alu 0xfffd
	v_add_co_ci_u32_e64 v9, null, v5, v9, vcc_lo
	s_and_saveexec_b32 s8, s2
	s_cbranch_execz .LBB2_576
; %bb.575:
	s_wait_alu 0xfffe
	v_dual_mov_b32 v12, s3 :: v_dual_mov_b32 v13, v3
	v_dual_mov_b32 v14, 2 :: v_dual_mov_b32 v15, 1
	global_store_b128 v[8:9], v[12:15], off offset:8
.LBB2_576:
	s_wait_alu 0xfffe
	s_or_b32 exec_lo, exec_lo, s8
	v_lshlrev_b64_e32 v[10:11], 12, v[10:11]
	s_mov_b32 s8, 0
	v_and_or_b32 v0, 0xffffff1f, v0, 32
	s_wait_alu 0xfffe
	s_mov_b32 s11, s8
	s_mov_b32 s9, s8
	;; [unrolled: 1-line block ×3, first 2 shown]
	v_add_co_u32 v6, vcc_lo, v6, v10
	s_wait_alu 0xfffd
	v_add_co_ci_u32_e64 v7, null, v7, v11, vcc_lo
	s_wait_alu 0xfffe
	v_dual_mov_b32 v15, s11 :: v_dual_mov_b32 v14, s10
	v_add_co_u32 v10, vcc_lo, v6, v32
	v_readfirstlane_b32 s12, v6
	v_readfirstlane_b32 s13, v7
	s_wait_alu 0xfffd
	v_add_co_ci_u32_e64 v11, null, 0, v7, vcc_lo
	v_dual_mov_b32 v13, s9 :: v_dual_mov_b32 v12, s8
	s_clause 0x3
	global_store_b128 v32, v[0:3], s[12:13]
	global_store_b128 v32, v[12:15], s[12:13] offset:16
	global_store_b128 v32, v[12:15], s[12:13] offset:32
	;; [unrolled: 1-line block ×3, first 2 shown]
	s_and_saveexec_b32 s3, s2
	s_cbranch_execz .LBB2_584
; %bb.577:
	v_mov_b32_e32 v7, 0
	v_mov_b32_e32 v13, s7
	s_mov_b32 s8, exec_lo
	s_clause 0x1
	global_load_b64 v[14:15], v7, s[4:5] offset:32 scope:SCOPE_SYS
	global_load_b64 v[0:1], v7, s[4:5] offset:40
	s_wait_loadcnt 0x0
	v_dual_mov_b32 v12, s6 :: v_dual_and_b32 v1, s7, v1
	v_and_b32_e32 v0, s6, v0
	s_delay_alu instid0(VALU_DEP_2) | instskip(NEXT) | instid1(VALU_DEP_2)
	v_mul_lo_u32 v1, 24, v1
	v_mul_lo_u32 v3, 0, v0
	v_mul_hi_u32 v6, 24, v0
	v_mul_lo_u32 v0, 24, v0
	s_delay_alu instid0(VALU_DEP_3) | instskip(NEXT) | instid1(VALU_DEP_2)
	v_add_nc_u32_e32 v1, v1, v3
	v_add_co_u32 v0, vcc_lo, v4, v0
	s_delay_alu instid0(VALU_DEP_2) | instskip(SKIP_1) | instid1(VALU_DEP_1)
	v_add_nc_u32_e32 v1, v1, v6
	s_wait_alu 0xfffd
	v_add_co_ci_u32_e64 v1, null, v5, v1, vcc_lo
	global_store_b64 v[0:1], v[14:15], off
	global_wb scope:SCOPE_SYS
	s_wait_storecnt 0x0
	global_atomic_cmpswap_b64 v[5:6], v7, v[12:15], s[4:5] offset:32 th:TH_ATOMIC_RETURN scope:SCOPE_SYS
	s_wait_loadcnt 0x0
	v_cmpx_ne_u64_e64 v[5:6], v[14:15]
	s_cbranch_execz .LBB2_580
; %bb.578:
	s_mov_b32 s9, 0
.LBB2_579:                              ; =>This Inner Loop Header: Depth=1
	v_dual_mov_b32 v3, s6 :: v_dual_mov_b32 v4, s7
	s_sleep 1
	global_store_b64 v[0:1], v[5:6], off
	global_wb scope:SCOPE_SYS
	s_wait_storecnt 0x0
	global_atomic_cmpswap_b64 v[3:4], v7, v[3:6], s[4:5] offset:32 th:TH_ATOMIC_RETURN scope:SCOPE_SYS
	s_wait_loadcnt 0x0
	v_cmp_eq_u64_e32 vcc_lo, v[3:4], v[5:6]
	v_dual_mov_b32 v6, v4 :: v_dual_mov_b32 v5, v3
	s_wait_alu 0xfffe
	s_or_b32 s9, vcc_lo, s9
	s_wait_alu 0xfffe
	s_and_not1_b32 exec_lo, exec_lo, s9
	s_cbranch_execnz .LBB2_579
.LBB2_580:
	s_wait_alu 0xfffe
	s_or_b32 exec_lo, exec_lo, s8
	v_mov_b32_e32 v4, 0
	s_mov_b32 s9, exec_lo
	s_mov_b32 s8, exec_lo
	s_wait_alu 0xfffe
	v_mbcnt_lo_u32_b32 v3, s9, 0
	global_load_b64 v[0:1], v4, s[4:5] offset:16
	v_cmpx_eq_u32_e32 0, v3
	s_cbranch_execz .LBB2_582
; %bb.581:
	s_bcnt1_i32_b32 s9, s9
	s_wait_alu 0xfffe
	v_mov_b32_e32 v3, s9
	global_wb scope:SCOPE_SYS
	s_wait_loadcnt 0x0
	s_wait_storecnt 0x0
	global_atomic_add_u64 v[0:1], v[3:4], off offset:8 scope:SCOPE_SYS
.LBB2_582:
	s_or_b32 exec_lo, exec_lo, s8
	s_wait_loadcnt 0x0
	global_load_b64 v[3:4], v[0:1], off offset:16
	s_wait_loadcnt 0x0
	v_cmp_eq_u64_e32 vcc_lo, 0, v[3:4]
	s_cbranch_vccnz .LBB2_584
; %bb.583:
	global_load_b32 v0, v[0:1], off offset:24
	v_mov_b32_e32 v1, 0
	s_wait_loadcnt 0x0
	v_readfirstlane_b32 s8, v0
	global_wb scope:SCOPE_SYS
	s_wait_storecnt 0x0
	global_store_b64 v[3:4], v[0:1], off scope:SCOPE_SYS
	s_and_b32 m0, s8, 0xffffff
	s_sendmsg sendmsg(MSG_INTERRUPT)
.LBB2_584:
	s_wait_alu 0xfffe
	s_or_b32 exec_lo, exec_lo, s3
	s_branch .LBB2_588
.LBB2_585:                              ;   in Loop: Header=BB2_588 Depth=1
	s_wait_alu 0xfffe
	s_or_b32 exec_lo, exec_lo, s3
	s_delay_alu instid0(VALU_DEP_1)
	v_readfirstlane_b32 s3, v0
	s_cmp_eq_u32 s3, 0
	s_cbranch_scc1 .LBB2_587
; %bb.586:                              ;   in Loop: Header=BB2_588 Depth=1
	s_sleep 1
	s_cbranch_execnz .LBB2_588
	s_branch .LBB2_590
.LBB2_587:
	s_branch .LBB2_590
.LBB2_588:                              ; =>This Inner Loop Header: Depth=1
	v_mov_b32_e32 v0, 1
	s_and_saveexec_b32 s3, s2
	s_cbranch_execz .LBB2_585
; %bb.589:                              ;   in Loop: Header=BB2_588 Depth=1
	global_load_b32 v0, v[8:9], off offset:20 scope:SCOPE_SYS
	s_wait_loadcnt 0x0
	global_inv scope:SCOPE_SYS
	v_and_b32_e32 v0, 1, v0
	s_branch .LBB2_585
.LBB2_590:
	global_load_b64 v[3:4], v[10:11], off
	s_and_saveexec_b32 s8, s2
	s_cbranch_execz .LBB2_594
; %bb.591:
	v_mov_b32_e32 v9, 0
	s_clause 0x2
	global_load_b64 v[0:1], v9, s[4:5] offset:40
	global_load_b64 v[12:13], v9, s[4:5] offset:24 scope:SCOPE_SYS
	global_load_b64 v[5:6], v9, s[4:5]
	s_wait_loadcnt 0x2
	v_readfirstlane_b32 s10, v0
	v_readfirstlane_b32 s11, v1
	s_add_nc_u64 s[2:3], s[10:11], 1
	s_wait_alu 0xfffe
	s_add_nc_u64 s[6:7], s[2:3], s[6:7]
	s_wait_alu 0xfffe
	s_cmp_eq_u64 s[6:7], 0
	s_cselect_b32 s3, s3, s7
	s_cselect_b32 s2, s2, s6
	s_wait_alu 0xfffe
	v_mov_b32_e32 v11, s3
	s_and_b64 s[6:7], s[2:3], s[10:11]
	v_mov_b32_e32 v10, s2
	s_wait_alu 0xfffe
	s_mul_u64 s[6:7], s[6:7], 24
	s_wait_loadcnt 0x0
	s_wait_alu 0xfffe
	v_add_co_u32 v0, vcc_lo, v5, s6
	s_wait_alu 0xfffd
	v_add_co_ci_u32_e64 v1, null, s7, v6, vcc_lo
	global_store_b64 v[0:1], v[12:13], off
	global_wb scope:SCOPE_SYS
	s_wait_storecnt 0x0
	global_atomic_cmpswap_b64 v[7:8], v9, v[10:13], s[4:5] offset:24 th:TH_ATOMIC_RETURN scope:SCOPE_SYS
	s_wait_loadcnt 0x0
	v_cmp_ne_u64_e32 vcc_lo, v[7:8], v[12:13]
	s_and_b32 exec_lo, exec_lo, vcc_lo
	s_cbranch_execz .LBB2_594
; %bb.592:
	s_mov_b32 s6, 0
.LBB2_593:                              ; =>This Inner Loop Header: Depth=1
	v_dual_mov_b32 v5, s2 :: v_dual_mov_b32 v6, s3
	s_sleep 1
	global_store_b64 v[0:1], v[7:8], off
	global_wb scope:SCOPE_SYS
	s_wait_storecnt 0x0
	global_atomic_cmpswap_b64 v[5:6], v9, v[5:8], s[4:5] offset:24 th:TH_ATOMIC_RETURN scope:SCOPE_SYS
	s_wait_loadcnt 0x0
	v_cmp_eq_u64_e32 vcc_lo, v[5:6], v[7:8]
	v_dual_mov_b32 v8, v6 :: v_dual_mov_b32 v7, v5
	s_wait_alu 0xfffe
	s_or_b32 s6, vcc_lo, s6
	s_wait_alu 0xfffe
	s_and_not1_b32 exec_lo, exec_lo, s6
	s_cbranch_execnz .LBB2_593
.LBB2_594:
	s_wait_alu 0xfffe
	s_or_b32 exec_lo, exec_lo, s8
	v_readfirstlane_b32 s2, v33
	v_mov_b32_e32 v0, 0
	v_mov_b32_e32 v1, 0
	s_wait_alu 0xf1ff
	s_delay_alu instid0(VALU_DEP_3)
	v_cmp_eq_u32_e64 s2, s2, v33
	s_and_saveexec_b32 s3, s2
	s_cbranch_execz .LBB2_600
; %bb.595:
	v_mov_b32_e32 v5, 0
	s_mov_b32 s6, exec_lo
	global_load_b64 v[8:9], v5, s[4:5] offset:24 scope:SCOPE_SYS
	s_wait_loadcnt 0x0
	global_inv scope:SCOPE_SYS
	s_clause 0x1
	global_load_b64 v[0:1], v5, s[4:5] offset:40
	global_load_b64 v[6:7], v5, s[4:5]
	s_wait_loadcnt 0x1
	v_and_b32_e32 v1, v1, v9
	v_and_b32_e32 v0, v0, v8
	s_delay_alu instid0(VALU_DEP_2) | instskip(NEXT) | instid1(VALU_DEP_2)
	v_mul_lo_u32 v1, 24, v1
	v_mul_lo_u32 v10, 0, v0
	v_mul_hi_u32 v11, 24, v0
	v_mul_lo_u32 v0, 24, v0
	s_delay_alu instid0(VALU_DEP_3) | instskip(SKIP_1) | instid1(VALU_DEP_2)
	v_add_nc_u32_e32 v1, v1, v10
	s_wait_loadcnt 0x0
	v_add_co_u32 v0, vcc_lo, v6, v0
	s_delay_alu instid0(VALU_DEP_2) | instskip(SKIP_1) | instid1(VALU_DEP_1)
	v_add_nc_u32_e32 v1, v1, v11
	s_wait_alu 0xfffd
	v_add_co_ci_u32_e64 v1, null, v7, v1, vcc_lo
	global_load_b64 v[6:7], v[0:1], off scope:SCOPE_SYS
	s_wait_loadcnt 0x0
	global_atomic_cmpswap_b64 v[0:1], v5, v[6:9], s[4:5] offset:24 th:TH_ATOMIC_RETURN scope:SCOPE_SYS
	s_wait_loadcnt 0x0
	global_inv scope:SCOPE_SYS
	v_cmpx_ne_u64_e64 v[0:1], v[8:9]
	s_cbranch_execz .LBB2_599
; %bb.596:
	s_mov_b32 s7, 0
.LBB2_597:                              ; =>This Inner Loop Header: Depth=1
	s_sleep 1
	s_clause 0x1
	global_load_b64 v[6:7], v5, s[4:5] offset:40
	global_load_b64 v[10:11], v5, s[4:5]
	v_dual_mov_b32 v9, v1 :: v_dual_mov_b32 v8, v0
	s_wait_loadcnt 0x1
	s_delay_alu instid0(VALU_DEP_1) | instskip(NEXT) | instid1(VALU_DEP_2)
	v_and_b32_e32 v0, v6, v8
	v_and_b32_e32 v6, v7, v9
	s_wait_loadcnt 0x0
	s_delay_alu instid0(VALU_DEP_2) | instskip(NEXT) | instid1(VALU_DEP_1)
	v_mad_co_u64_u32 v[0:1], null, v0, 24, v[10:11]
	v_mad_co_u64_u32 v[6:7], null, v6, 24, v[1:2]
	s_delay_alu instid0(VALU_DEP_1)
	v_mov_b32_e32 v1, v6
	global_load_b64 v[6:7], v[0:1], off scope:SCOPE_SYS
	s_wait_loadcnt 0x0
	global_atomic_cmpswap_b64 v[0:1], v5, v[6:9], s[4:5] offset:24 th:TH_ATOMIC_RETURN scope:SCOPE_SYS
	s_wait_loadcnt 0x0
	global_inv scope:SCOPE_SYS
	v_cmp_eq_u64_e32 vcc_lo, v[0:1], v[8:9]
	s_wait_alu 0xfffe
	s_or_b32 s7, vcc_lo, s7
	s_wait_alu 0xfffe
	s_and_not1_b32 exec_lo, exec_lo, s7
	s_cbranch_execnz .LBB2_597
; %bb.598:
	s_or_b32 exec_lo, exec_lo, s7
.LBB2_599:
	s_wait_alu 0xfffe
	s_or_b32 exec_lo, exec_lo, s6
.LBB2_600:
	s_wait_alu 0xfffe
	s_or_b32 exec_lo, exec_lo, s3
	v_readfirstlane_b32 s6, v0
	v_mov_b32_e32 v6, 0
	v_readfirstlane_b32 s7, v1
	s_mov_b32 s3, exec_lo
	s_clause 0x1
	global_load_b64 v[11:12], v6, s[4:5] offset:40
	global_load_b128 v[7:10], v6, s[4:5]
	s_wait_loadcnt 0x1
	s_wait_alu 0xf1ff
	v_and_b32_e32 v12, s7, v12
	v_and_b32_e32 v11, s6, v11
	s_delay_alu instid0(VALU_DEP_2) | instskip(NEXT) | instid1(VALU_DEP_2)
	v_mul_lo_u32 v0, 24, v12
	v_mul_lo_u32 v1, 0, v11
	v_mul_hi_u32 v5, 24, v11
	v_mul_lo_u32 v13, 24, v11
	s_delay_alu instid0(VALU_DEP_3) | instskip(NEXT) | instid1(VALU_DEP_1)
	v_add_nc_u32_e32 v0, v0, v1
	v_add_nc_u32_e32 v1, v0, v5
	s_wait_loadcnt 0x0
	s_delay_alu instid0(VALU_DEP_3) | instskip(SKIP_1) | instid1(VALU_DEP_2)
	v_add_co_u32 v0, vcc_lo, v7, v13
	s_wait_alu 0xfffd
	v_add_co_ci_u32_e64 v1, null, v8, v1, vcc_lo
	s_and_saveexec_b32 s8, s2
	s_cbranch_execz .LBB2_602
; %bb.601:
	s_wait_alu 0xfffe
	v_dual_mov_b32 v5, s3 :: v_dual_mov_b32 v16, 1
	v_dual_mov_b32 v15, 2 :: v_dual_mov_b32 v14, v6
	s_delay_alu instid0(VALU_DEP_2)
	v_mov_b32_e32 v13, v5
	global_store_b128 v[0:1], v[13:16], off offset:8
.LBB2_602:
	s_wait_alu 0xfffe
	s_or_b32 exec_lo, exec_lo, s8
	v_lshlrev_b64_e32 v[11:12], 12, v[11:12]
	s_mov_b32 s8, 0
	v_lshrrev_b32_e32 v5, 1, v29
	s_wait_alu 0xfffe
	s_mov_b32 s11, s8
	s_mov_b32 s9, s8
	;; [unrolled: 1-line block ×3, first 2 shown]
	v_add_co_u32 v9, vcc_lo, v9, v11
	s_wait_alu 0xfffd
	v_add_co_ci_u32_e64 v10, null, v10, v12, vcc_lo
	v_and_or_b32 v3, 0xffffff1f, v3, 32
	s_delay_alu instid0(VALU_DEP_3) | instskip(SKIP_1) | instid1(VALU_DEP_4)
	v_add_co_u32 v11, vcc_lo, v9, v32
	v_readfirstlane_b32 s12, v9
	v_readfirstlane_b32 s13, v10
	s_wait_alu 0xfffe
	v_dual_mov_b32 v16, s11 :: v_dual_mov_b32 v15, s10
	s_wait_alu 0xfffd
	v_add_co_ci_u32_e64 v12, null, 0, v10, vcc_lo
	v_dual_mov_b32 v14, s9 :: v_dual_mov_b32 v13, s8
	s_clause 0x3
	global_store_b128 v32, v[3:6], s[12:13]
	global_store_b128 v32, v[13:16], s[12:13] offset:16
	global_store_b128 v32, v[13:16], s[12:13] offset:32
	;; [unrolled: 1-line block ×3, first 2 shown]
	s_and_saveexec_b32 s3, s2
	s_cbranch_execz .LBB2_610
; %bb.603:
	v_mov_b32_e32 v13, 0
	s_mov_b32 s8, exec_lo
	s_clause 0x1
	global_load_b64 v[16:17], v13, s[4:5] offset:32 scope:SCOPE_SYS
	global_load_b64 v[3:4], v13, s[4:5] offset:40
	v_dual_mov_b32 v14, s6 :: v_dual_mov_b32 v15, s7
	s_wait_loadcnt 0x0
	v_and_b32_e32 v4, s7, v4
	v_and_b32_e32 v3, s6, v3
	s_delay_alu instid0(VALU_DEP_2) | instskip(NEXT) | instid1(VALU_DEP_2)
	v_mul_lo_u32 v4, 24, v4
	v_mul_lo_u32 v9, 0, v3
	v_mul_hi_u32 v10, 24, v3
	v_mul_lo_u32 v3, 24, v3
	s_delay_alu instid0(VALU_DEP_3) | instskip(NEXT) | instid1(VALU_DEP_2)
	v_add_nc_u32_e32 v4, v4, v9
	v_add_co_u32 v3, vcc_lo, v7, v3
	s_delay_alu instid0(VALU_DEP_2) | instskip(SKIP_1) | instid1(VALU_DEP_1)
	v_add_nc_u32_e32 v4, v4, v10
	s_wait_alu 0xfffd
	v_add_co_ci_u32_e64 v4, null, v8, v4, vcc_lo
	global_store_b64 v[3:4], v[16:17], off
	global_wb scope:SCOPE_SYS
	s_wait_storecnt 0x0
	global_atomic_cmpswap_b64 v[9:10], v13, v[14:17], s[4:5] offset:32 th:TH_ATOMIC_RETURN scope:SCOPE_SYS
	s_wait_loadcnt 0x0
	v_cmpx_ne_u64_e64 v[9:10], v[16:17]
	s_cbranch_execz .LBB2_606
; %bb.604:
	s_mov_b32 s9, 0
.LBB2_605:                              ; =>This Inner Loop Header: Depth=1
	v_dual_mov_b32 v7, s6 :: v_dual_mov_b32 v8, s7
	s_sleep 1
	global_store_b64 v[3:4], v[9:10], off
	global_wb scope:SCOPE_SYS
	s_wait_storecnt 0x0
	global_atomic_cmpswap_b64 v[7:8], v13, v[7:10], s[4:5] offset:32 th:TH_ATOMIC_RETURN scope:SCOPE_SYS
	s_wait_loadcnt 0x0
	v_cmp_eq_u64_e32 vcc_lo, v[7:8], v[9:10]
	v_dual_mov_b32 v10, v8 :: v_dual_mov_b32 v9, v7
	s_wait_alu 0xfffe
	s_or_b32 s9, vcc_lo, s9
	s_wait_alu 0xfffe
	s_and_not1_b32 exec_lo, exec_lo, s9
	s_cbranch_execnz .LBB2_605
.LBB2_606:
	s_wait_alu 0xfffe
	s_or_b32 exec_lo, exec_lo, s8
	v_mov_b32_e32 v8, 0
	s_mov_b32 s9, exec_lo
	s_mov_b32 s8, exec_lo
	s_wait_alu 0xfffe
	v_mbcnt_lo_u32_b32 v7, s9, 0
	global_load_b64 v[3:4], v8, s[4:5] offset:16
	v_cmpx_eq_u32_e32 0, v7
	s_cbranch_execz .LBB2_608
; %bb.607:
	s_bcnt1_i32_b32 s9, s9
	s_wait_alu 0xfffe
	v_mov_b32_e32 v7, s9
	global_wb scope:SCOPE_SYS
	s_wait_loadcnt 0x0
	s_wait_storecnt 0x0
	global_atomic_add_u64 v[3:4], v[7:8], off offset:8 scope:SCOPE_SYS
.LBB2_608:
	s_or_b32 exec_lo, exec_lo, s8
	s_wait_loadcnt 0x0
	global_load_b64 v[7:8], v[3:4], off offset:16
	s_wait_loadcnt 0x0
	v_cmp_eq_u64_e32 vcc_lo, 0, v[7:8]
	s_cbranch_vccnz .LBB2_610
; %bb.609:
	global_load_b32 v3, v[3:4], off offset:24
	v_mov_b32_e32 v4, 0
	s_wait_loadcnt 0x0
	v_readfirstlane_b32 s8, v3
	global_wb scope:SCOPE_SYS
	s_wait_storecnt 0x0
	global_store_b64 v[7:8], v[3:4], off scope:SCOPE_SYS
	s_and_b32 m0, s8, 0xffffff
	s_sendmsg sendmsg(MSG_INTERRUPT)
.LBB2_610:
	s_wait_alu 0xfffe
	s_or_b32 exec_lo, exec_lo, s3
	s_branch .LBB2_614
.LBB2_611:                              ;   in Loop: Header=BB2_614 Depth=1
	s_wait_alu 0xfffe
	s_or_b32 exec_lo, exec_lo, s3
	s_delay_alu instid0(VALU_DEP_1)
	v_readfirstlane_b32 s3, v3
	s_cmp_eq_u32 s3, 0
	s_cbranch_scc1 .LBB2_613
; %bb.612:                              ;   in Loop: Header=BB2_614 Depth=1
	s_sleep 1
	s_cbranch_execnz .LBB2_614
	s_branch .LBB2_616
.LBB2_613:
	s_branch .LBB2_616
.LBB2_614:                              ; =>This Inner Loop Header: Depth=1
	v_mov_b32_e32 v3, 1
	s_and_saveexec_b32 s3, s2
	s_cbranch_execz .LBB2_611
; %bb.615:                              ;   in Loop: Header=BB2_614 Depth=1
	global_load_b32 v3, v[0:1], off offset:20 scope:SCOPE_SYS
	s_wait_loadcnt 0x0
	global_inv scope:SCOPE_SYS
	v_and_b32_e32 v3, 1, v3
	s_branch .LBB2_611
.LBB2_616:
	global_load_b64 v[7:8], v[11:12], off
	s_and_saveexec_b32 s8, s2
	s_cbranch_execz .LBB2_620
; %bb.617:
	v_mov_b32_e32 v3, 0
	s_clause 0x2
	global_load_b64 v[0:1], v3, s[4:5] offset:40
	global_load_b64 v[13:14], v3, s[4:5] offset:24 scope:SCOPE_SYS
	global_load_b64 v[9:10], v3, s[4:5]
	s_wait_loadcnt 0x2
	v_readfirstlane_b32 s10, v0
	v_readfirstlane_b32 s11, v1
	s_add_nc_u64 s[2:3], s[10:11], 1
	s_wait_alu 0xfffe
	s_add_nc_u64 s[6:7], s[2:3], s[6:7]
	s_wait_alu 0xfffe
	s_cmp_eq_u64 s[6:7], 0
	s_cselect_b32 s3, s3, s7
	s_cselect_b32 s2, s2, s6
	s_wait_alu 0xfffe
	v_mov_b32_e32 v12, s3
	s_and_b64 s[6:7], s[2:3], s[10:11]
	v_mov_b32_e32 v11, s2
	s_wait_alu 0xfffe
	s_mul_u64 s[6:7], s[6:7], 24
	s_wait_loadcnt 0x0
	s_wait_alu 0xfffe
	v_add_co_u32 v0, vcc_lo, v9, s6
	s_wait_alu 0xfffd
	v_add_co_ci_u32_e64 v1, null, s7, v10, vcc_lo
	global_store_b64 v[0:1], v[13:14], off
	global_wb scope:SCOPE_SYS
	s_wait_storecnt 0x0
	global_atomic_cmpswap_b64 v[11:12], v3, v[11:14], s[4:5] offset:24 th:TH_ATOMIC_RETURN scope:SCOPE_SYS
	s_wait_loadcnt 0x0
	v_cmp_ne_u64_e32 vcc_lo, v[11:12], v[13:14]
	s_and_b32 exec_lo, exec_lo, vcc_lo
	s_cbranch_execz .LBB2_620
; %bb.618:
	s_mov_b32 s6, 0
.LBB2_619:                              ; =>This Inner Loop Header: Depth=1
	v_dual_mov_b32 v9, s2 :: v_dual_mov_b32 v10, s3
	s_sleep 1
	global_store_b64 v[0:1], v[11:12], off
	global_wb scope:SCOPE_SYS
	s_wait_storecnt 0x0
	global_atomic_cmpswap_b64 v[9:10], v3, v[9:12], s[4:5] offset:24 th:TH_ATOMIC_RETURN scope:SCOPE_SYS
	s_wait_loadcnt 0x0
	v_cmp_eq_u64_e32 vcc_lo, v[9:10], v[11:12]
	v_dual_mov_b32 v12, v10 :: v_dual_mov_b32 v11, v9
	s_wait_alu 0xfffe
	s_or_b32 s6, vcc_lo, s6
	s_wait_alu 0xfffe
	s_and_not1_b32 exec_lo, exec_lo, s6
	s_cbranch_execnz .LBB2_619
.LBB2_620:
	s_wait_alu 0xfffe
	s_or_b32 exec_lo, exec_lo, s8
	v_readfirstlane_b32 s2, v33
	v_mov_b32_e32 v0, 0
	v_mov_b32_e32 v1, 0
	s_wait_alu 0xf1ff
	s_delay_alu instid0(VALU_DEP_3)
	v_cmp_eq_u32_e64 s2, s2, v33
	s_and_saveexec_b32 s3, s2
	s_cbranch_execz .LBB2_626
; %bb.621:
	v_mov_b32_e32 v3, 0
	s_mov_b32 s6, exec_lo
	global_load_b64 v[11:12], v3, s[4:5] offset:24 scope:SCOPE_SYS
	s_wait_loadcnt 0x0
	global_inv scope:SCOPE_SYS
	s_clause 0x1
	global_load_b64 v[0:1], v3, s[4:5] offset:40
	global_load_b64 v[9:10], v3, s[4:5]
	s_wait_loadcnt 0x1
	v_and_b32_e32 v1, v1, v12
	v_and_b32_e32 v0, v0, v11
	s_delay_alu instid0(VALU_DEP_2) | instskip(NEXT) | instid1(VALU_DEP_2)
	v_mul_lo_u32 v1, 24, v1
	v_mul_lo_u32 v4, 0, v0
	v_mul_hi_u32 v13, 24, v0
	v_mul_lo_u32 v0, 24, v0
	s_delay_alu instid0(VALU_DEP_3) | instskip(SKIP_1) | instid1(VALU_DEP_2)
	v_add_nc_u32_e32 v1, v1, v4
	s_wait_loadcnt 0x0
	v_add_co_u32 v0, vcc_lo, v9, v0
	s_delay_alu instid0(VALU_DEP_2) | instskip(SKIP_1) | instid1(VALU_DEP_1)
	v_add_nc_u32_e32 v1, v1, v13
	s_wait_alu 0xfffd
	v_add_co_ci_u32_e64 v1, null, v10, v1, vcc_lo
	global_load_b64 v[9:10], v[0:1], off scope:SCOPE_SYS
	s_wait_loadcnt 0x0
	global_atomic_cmpswap_b64 v[0:1], v3, v[9:12], s[4:5] offset:24 th:TH_ATOMIC_RETURN scope:SCOPE_SYS
	s_wait_loadcnt 0x0
	global_inv scope:SCOPE_SYS
	v_cmpx_ne_u64_e64 v[0:1], v[11:12]
	s_cbranch_execz .LBB2_625
; %bb.622:
	s_mov_b32 s7, 0
.LBB2_623:                              ; =>This Inner Loop Header: Depth=1
	s_sleep 1
	s_clause 0x1
	global_load_b64 v[9:10], v3, s[4:5] offset:40
	global_load_b64 v[13:14], v3, s[4:5]
	v_dual_mov_b32 v12, v1 :: v_dual_mov_b32 v11, v0
	s_wait_loadcnt 0x1
	s_delay_alu instid0(VALU_DEP_1) | instskip(NEXT) | instid1(VALU_DEP_2)
	v_and_b32_e32 v0, v9, v11
	v_and_b32_e32 v4, v10, v12
	s_wait_loadcnt 0x0
	s_delay_alu instid0(VALU_DEP_2) | instskip(NEXT) | instid1(VALU_DEP_1)
	v_mad_co_u64_u32 v[0:1], null, v0, 24, v[13:14]
	v_mad_co_u64_u32 v[9:10], null, v4, 24, v[1:2]
	s_delay_alu instid0(VALU_DEP_1)
	v_mov_b32_e32 v1, v9
	global_load_b64 v[9:10], v[0:1], off scope:SCOPE_SYS
	s_wait_loadcnt 0x0
	global_atomic_cmpswap_b64 v[0:1], v3, v[9:12], s[4:5] offset:24 th:TH_ATOMIC_RETURN scope:SCOPE_SYS
	s_wait_loadcnt 0x0
	global_inv scope:SCOPE_SYS
	v_cmp_eq_u64_e32 vcc_lo, v[0:1], v[11:12]
	s_wait_alu 0xfffe
	s_or_b32 s7, vcc_lo, s7
	s_wait_alu 0xfffe
	s_and_not1_b32 exec_lo, exec_lo, s7
	s_cbranch_execnz .LBB2_623
; %bb.624:
	s_or_b32 exec_lo, exec_lo, s7
.LBB2_625:
	s_wait_alu 0xfffe
	s_or_b32 exec_lo, exec_lo, s6
.LBB2_626:
	s_wait_alu 0xfffe
	s_or_b32 exec_lo, exec_lo, s3
	v_readfirstlane_b32 s6, v0
	v_mov_b32_e32 v10, 0
	v_readfirstlane_b32 s7, v1
	s_mov_b32 s3, exec_lo
	s_clause 0x1
	global_load_b64 v[3:4], v10, s[4:5] offset:40
	global_load_b128 v[11:14], v10, s[4:5]
	s_wait_loadcnt 0x1
	s_wait_alu 0xf1ff
	v_and_b32_e32 v4, s7, v4
	v_and_b32_e32 v3, s6, v3
	s_delay_alu instid0(VALU_DEP_2) | instskip(NEXT) | instid1(VALU_DEP_2)
	v_mul_lo_u32 v0, 24, v4
	v_mul_lo_u32 v1, 0, v3
	v_mul_hi_u32 v9, 24, v3
	v_mul_lo_u32 v15, 24, v3
	s_delay_alu instid0(VALU_DEP_3) | instskip(NEXT) | instid1(VALU_DEP_1)
	v_add_nc_u32_e32 v0, v0, v1
	v_add_nc_u32_e32 v1, v0, v9
	s_wait_loadcnt 0x0
	s_delay_alu instid0(VALU_DEP_3) | instskip(SKIP_1) | instid1(VALU_DEP_2)
	v_add_co_u32 v0, vcc_lo, v11, v15
	s_wait_alu 0xfffd
	v_add_co_ci_u32_e64 v1, null, v12, v1, vcc_lo
	s_and_saveexec_b32 s8, s2
	s_cbranch_execz .LBB2_628
; %bb.627:
	s_wait_alu 0xfffe
	v_dual_mov_b32 v9, s3 :: v_dual_mov_b32 v18, 1
	v_dual_mov_b32 v17, 2 :: v_dual_mov_b32 v16, v10
	s_delay_alu instid0(VALU_DEP_2)
	v_mov_b32_e32 v15, v9
	global_store_b128 v[0:1], v[15:18], off offset:8
.LBB2_628:
	s_wait_alu 0xfffe
	s_or_b32 exec_lo, exec_lo, s8
	v_lshlrev_b64_e32 v[3:4], 12, v[3:4]
	s_add_co_i32 s20, s20, 1
	s_mov_b32 s8, 0
	s_wait_alu 0xfffe
	s_lshr_b32 s3, s20, 1
	s_mov_b32 s11, s8
	s_mov_b32 s9, s8
	v_add_co_u32 v3, vcc_lo, v13, v3
	s_wait_alu 0xfffd
	v_add_co_ci_u32_e64 v4, null, v14, v4, vcc_lo
	s_mov_b32 s10, s8
	v_and_or_b32 v7, 0xffffff1d, v7, 34
	s_wait_alu 0xfffe
	v_dual_mov_b32 v9, s3 :: v_dual_mov_b32 v16, s11
	v_readfirstlane_b32 s12, v3
	v_readfirstlane_b32 s13, v4
	v_dual_mov_b32 v15, s10 :: v_dual_mov_b32 v14, s9
	v_mov_b32_e32 v13, s8
	s_clause 0x3
	global_store_b128 v32, v[7:10], s[12:13]
	global_store_b128 v32, v[13:16], s[12:13] offset:16
	global_store_b128 v32, v[13:16], s[12:13] offset:32
	;; [unrolled: 1-line block ×3, first 2 shown]
	s_and_saveexec_b32 s3, s2
	s_cbranch_execz .LBB2_636
; %bb.629:
	v_mov_b32_e32 v13, 0
	s_mov_b32 s8, exec_lo
	s_clause 0x1
	global_load_b64 v[16:17], v13, s[4:5] offset:32 scope:SCOPE_SYS
	global_load_b64 v[3:4], v13, s[4:5] offset:40
	v_dual_mov_b32 v14, s6 :: v_dual_mov_b32 v15, s7
	s_wait_loadcnt 0x0
	v_and_b32_e32 v4, s7, v4
	v_and_b32_e32 v3, s6, v3
	s_delay_alu instid0(VALU_DEP_2) | instskip(NEXT) | instid1(VALU_DEP_2)
	v_mul_lo_u32 v4, 24, v4
	v_mul_lo_u32 v7, 0, v3
	v_mul_hi_u32 v8, 24, v3
	v_mul_lo_u32 v3, 24, v3
	s_delay_alu instid0(VALU_DEP_3) | instskip(NEXT) | instid1(VALU_DEP_2)
	v_add_nc_u32_e32 v4, v4, v7
	v_add_co_u32 v3, vcc_lo, v11, v3
	s_delay_alu instid0(VALU_DEP_2) | instskip(SKIP_1) | instid1(VALU_DEP_1)
	v_add_nc_u32_e32 v4, v4, v8
	s_wait_alu 0xfffd
	v_add_co_ci_u32_e64 v4, null, v12, v4, vcc_lo
	global_store_b64 v[3:4], v[16:17], off
	global_wb scope:SCOPE_SYS
	s_wait_storecnt 0x0
	global_atomic_cmpswap_b64 v[9:10], v13, v[14:17], s[4:5] offset:32 th:TH_ATOMIC_RETURN scope:SCOPE_SYS
	s_wait_loadcnt 0x0
	v_cmpx_ne_u64_e64 v[9:10], v[16:17]
	s_cbranch_execz .LBB2_632
; %bb.630:
	s_mov_b32 s9, 0
.LBB2_631:                              ; =>This Inner Loop Header: Depth=1
	v_dual_mov_b32 v7, s6 :: v_dual_mov_b32 v8, s7
	s_sleep 1
	global_store_b64 v[3:4], v[9:10], off
	global_wb scope:SCOPE_SYS
	s_wait_storecnt 0x0
	global_atomic_cmpswap_b64 v[7:8], v13, v[7:10], s[4:5] offset:32 th:TH_ATOMIC_RETURN scope:SCOPE_SYS
	s_wait_loadcnt 0x0
	v_cmp_eq_u64_e32 vcc_lo, v[7:8], v[9:10]
	v_dual_mov_b32 v10, v8 :: v_dual_mov_b32 v9, v7
	s_wait_alu 0xfffe
	s_or_b32 s9, vcc_lo, s9
	s_wait_alu 0xfffe
	s_and_not1_b32 exec_lo, exec_lo, s9
	s_cbranch_execnz .LBB2_631
.LBB2_632:
	s_wait_alu 0xfffe
	s_or_b32 exec_lo, exec_lo, s8
	v_mov_b32_e32 v8, 0
	s_mov_b32 s9, exec_lo
	s_mov_b32 s8, exec_lo
	s_wait_alu 0xfffe
	v_mbcnt_lo_u32_b32 v7, s9, 0
	global_load_b64 v[3:4], v8, s[4:5] offset:16
	v_cmpx_eq_u32_e32 0, v7
	s_cbranch_execz .LBB2_634
; %bb.633:
	s_bcnt1_i32_b32 s9, s9
	s_wait_alu 0xfffe
	v_mov_b32_e32 v7, s9
	global_wb scope:SCOPE_SYS
	s_wait_loadcnt 0x0
	s_wait_storecnt 0x0
	global_atomic_add_u64 v[3:4], v[7:8], off offset:8 scope:SCOPE_SYS
.LBB2_634:
	s_or_b32 exec_lo, exec_lo, s8
	s_wait_loadcnt 0x0
	global_load_b64 v[7:8], v[3:4], off offset:16
	s_wait_loadcnt 0x0
	v_cmp_eq_u64_e32 vcc_lo, 0, v[7:8]
	s_cbranch_vccnz .LBB2_636
; %bb.635:
	global_load_b32 v3, v[3:4], off offset:24
	v_mov_b32_e32 v4, 0
	s_wait_loadcnt 0x0
	v_readfirstlane_b32 s8, v3
	global_wb scope:SCOPE_SYS
	s_wait_storecnt 0x0
	global_store_b64 v[7:8], v[3:4], off scope:SCOPE_SYS
	s_and_b32 m0, s8, 0xffffff
	s_sendmsg sendmsg(MSG_INTERRUPT)
.LBB2_636:
	s_wait_alu 0xfffe
	s_or_b32 exec_lo, exec_lo, s3
	s_branch .LBB2_640
.LBB2_637:                              ;   in Loop: Header=BB2_640 Depth=1
	s_wait_alu 0xfffe
	s_or_b32 exec_lo, exec_lo, s3
	s_delay_alu instid0(VALU_DEP_1)
	v_readfirstlane_b32 s3, v3
	s_cmp_eq_u32 s3, 0
	s_cbranch_scc1 .LBB2_639
; %bb.638:                              ;   in Loop: Header=BB2_640 Depth=1
	s_sleep 1
	s_cbranch_execnz .LBB2_640
	s_branch .LBB2_642
.LBB2_639:
	s_branch .LBB2_642
.LBB2_640:                              ; =>This Inner Loop Header: Depth=1
	v_mov_b32_e32 v3, 1
	s_and_saveexec_b32 s3, s2
	s_cbranch_execz .LBB2_637
; %bb.641:                              ;   in Loop: Header=BB2_640 Depth=1
	global_load_b32 v3, v[0:1], off offset:20 scope:SCOPE_SYS
	s_wait_loadcnt 0x0
	global_inv scope:SCOPE_SYS
	v_and_b32_e32 v3, 1, v3
	s_branch .LBB2_637
.LBB2_642:
	s_and_saveexec_b32 s8, s2
	s_cbranch_execz .LBB2_646
; %bb.643:
	v_mov_b32_e32 v3, 0
	s_clause 0x2
	global_load_b64 v[0:1], v3, s[4:5] offset:40
	global_load_b64 v[11:12], v3, s[4:5] offset:24 scope:SCOPE_SYS
	global_load_b64 v[7:8], v3, s[4:5]
	s_wait_loadcnt 0x2
	v_readfirstlane_b32 s10, v0
	v_readfirstlane_b32 s11, v1
	s_add_nc_u64 s[2:3], s[10:11], 1
	s_wait_alu 0xfffe
	s_add_nc_u64 s[6:7], s[2:3], s[6:7]
	s_wait_alu 0xfffe
	s_cmp_eq_u64 s[6:7], 0
	s_cselect_b32 s3, s3, s7
	s_cselect_b32 s2, s2, s6
	s_wait_alu 0xfffe
	v_mov_b32_e32 v10, s3
	s_and_b64 s[6:7], s[2:3], s[10:11]
	v_mov_b32_e32 v9, s2
	s_wait_alu 0xfffe
	s_mul_u64 s[6:7], s[6:7], 24
	s_wait_loadcnt 0x0
	s_wait_alu 0xfffe
	v_add_co_u32 v0, vcc_lo, v7, s6
	s_wait_alu 0xfffd
	v_add_co_ci_u32_e64 v1, null, s7, v8, vcc_lo
	global_store_b64 v[0:1], v[11:12], off
	global_wb scope:SCOPE_SYS
	s_wait_storecnt 0x0
	global_atomic_cmpswap_b64 v[9:10], v3, v[9:12], s[4:5] offset:24 th:TH_ATOMIC_RETURN scope:SCOPE_SYS
	s_wait_loadcnt 0x0
	v_cmp_ne_u64_e32 vcc_lo, v[9:10], v[11:12]
	s_and_b32 exec_lo, exec_lo, vcc_lo
	s_cbranch_execz .LBB2_646
; %bb.644:
	s_mov_b32 s6, 0
.LBB2_645:                              ; =>This Inner Loop Header: Depth=1
	v_dual_mov_b32 v7, s2 :: v_dual_mov_b32 v8, s3
	s_sleep 1
	global_store_b64 v[0:1], v[9:10], off
	global_wb scope:SCOPE_SYS
	s_wait_storecnt 0x0
	global_atomic_cmpswap_b64 v[7:8], v3, v[7:10], s[4:5] offset:24 th:TH_ATOMIC_RETURN scope:SCOPE_SYS
	s_wait_loadcnt 0x0
	v_cmp_eq_u64_e32 vcc_lo, v[7:8], v[9:10]
	v_dual_mov_b32 v10, v8 :: v_dual_mov_b32 v9, v7
	s_wait_alu 0xfffe
	s_or_b32 s6, vcc_lo, s6
	s_wait_alu 0xfffe
	s_and_not1_b32 exec_lo, exec_lo, s6
	s_cbranch_execnz .LBB2_645
.LBB2_646:
	s_wait_alu 0xfffe
	s_or_b32 exec_lo, exec_lo, s8
	s_load_b64 s[0:1], s[0:1], 0x0
	v_lshlrev_b64_e32 v[0:1], 2, v[5:6]
	s_wait_kmcnt 0x0
	s_delay_alu instid0(VALU_DEP_1) | instskip(SKIP_1) | instid1(VALU_DEP_2)
	v_add_co_u32 v0, vcc_lo, s0, v0
	s_wait_alu 0xfffd
	v_add_co_ci_u32_e64 v1, null, s1, v1, vcc_lo
	global_store_b32 v[0:1], v2, off
	s_endpgm
	.section	.rodata,"a",@progbits
	.p2align	6, 0x0
	.amdhsa_kernel _Z32kernel_cg_group_partition_staticILj2EEvPibS0_
		.amdhsa_group_segment_fixed_size 0
		.amdhsa_private_segment_fixed_size 0
		.amdhsa_kernarg_size 280
		.amdhsa_user_sgpr_count 2
		.amdhsa_user_sgpr_dispatch_ptr 0
		.amdhsa_user_sgpr_queue_ptr 0
		.amdhsa_user_sgpr_kernarg_segment_ptr 1
		.amdhsa_user_sgpr_dispatch_id 0
		.amdhsa_user_sgpr_private_segment_size 0
		.amdhsa_wavefront_size32 1
		.amdhsa_uses_dynamic_stack 0
		.amdhsa_enable_private_segment 0
		.amdhsa_system_sgpr_workgroup_id_x 1
		.amdhsa_system_sgpr_workgroup_id_y 0
		.amdhsa_system_sgpr_workgroup_id_z 0
		.amdhsa_system_sgpr_workgroup_info 0
		.amdhsa_system_vgpr_workitem_id 2
		.amdhsa_next_free_vgpr 36
		.amdhsa_next_free_sgpr 28
		.amdhsa_reserve_vcc 1
		.amdhsa_float_round_mode_32 0
		.amdhsa_float_round_mode_16_64 0
		.amdhsa_float_denorm_mode_32 3
		.amdhsa_float_denorm_mode_16_64 3
		.amdhsa_fp16_overflow 0
		.amdhsa_workgroup_processor_mode 1
		.amdhsa_memory_ordered 1
		.amdhsa_forward_progress 1
		.amdhsa_inst_pref_size 255
		.amdhsa_round_robin_scheduling 0
		.amdhsa_exception_fp_ieee_invalid_op 0
		.amdhsa_exception_fp_denorm_src 0
		.amdhsa_exception_fp_ieee_div_zero 0
		.amdhsa_exception_fp_ieee_overflow 0
		.amdhsa_exception_fp_ieee_underflow 0
		.amdhsa_exception_fp_ieee_inexact 0
		.amdhsa_exception_int_div_zero 0
	.end_amdhsa_kernel
	.section	.text._Z32kernel_cg_group_partition_staticILj2EEvPibS0_,"axG",@progbits,_Z32kernel_cg_group_partition_staticILj2EEvPibS0_,comdat
.Lfunc_end2:
	.size	_Z32kernel_cg_group_partition_staticILj2EEvPibS0_, .Lfunc_end2-_Z32kernel_cg_group_partition_staticILj2EEvPibS0_
                                        ; -- End function
	.set _Z32kernel_cg_group_partition_staticILj2EEvPibS0_.num_vgpr, 36
	.set _Z32kernel_cg_group_partition_staticILj2EEvPibS0_.num_agpr, 0
	.set _Z32kernel_cg_group_partition_staticILj2EEvPibS0_.numbered_sgpr, 28
	.set _Z32kernel_cg_group_partition_staticILj2EEvPibS0_.num_named_barrier, 0
	.set _Z32kernel_cg_group_partition_staticILj2EEvPibS0_.private_seg_size, 0
	.set _Z32kernel_cg_group_partition_staticILj2EEvPibS0_.uses_vcc, 1
	.set _Z32kernel_cg_group_partition_staticILj2EEvPibS0_.uses_flat_scratch, 0
	.set _Z32kernel_cg_group_partition_staticILj2EEvPibS0_.has_dyn_sized_stack, 0
	.set _Z32kernel_cg_group_partition_staticILj2EEvPibS0_.has_recursion, 0
	.set _Z32kernel_cg_group_partition_staticILj2EEvPibS0_.has_indirect_call, 0
	.section	.AMDGPU.csdata,"",@progbits
; Kernel info:
; codeLenInByte = 34132
; TotalNumSgprs: 30
; NumVgprs: 36
; ScratchSize: 0
; MemoryBound: 0
; FloatMode: 240
; IeeeMode: 1
; LDSByteSize: 0 bytes/workgroup (compile time only)
; SGPRBlocks: 0
; VGPRBlocks: 4
; NumSGPRsForWavesPerEU: 30
; NumVGPRsForWavesPerEU: 36
; Occupancy: 16
; WaveLimiterHint : 1
; COMPUTE_PGM_RSRC2:SCRATCH_EN: 0
; COMPUTE_PGM_RSRC2:USER_SGPR: 2
; COMPUTE_PGM_RSRC2:TRAP_HANDLER: 0
; COMPUTE_PGM_RSRC2:TGID_X_EN: 1
; COMPUTE_PGM_RSRC2:TGID_Y_EN: 0
; COMPUTE_PGM_RSRC2:TGID_Z_EN: 0
; COMPUTE_PGM_RSRC2:TIDIG_COMP_CNT: 2
	.section	.text._Z32kernel_cg_group_partition_staticILj4EEvPibS0_,"axG",@progbits,_Z32kernel_cg_group_partition_staticILj4EEvPibS0_,comdat
	.protected	_Z32kernel_cg_group_partition_staticILj4EEvPibS0_ ; -- Begin function _Z32kernel_cg_group_partition_staticILj4EEvPibS0_
	.globl	_Z32kernel_cg_group_partition_staticILj4EEvPibS0_
	.p2align	8
	.type	_Z32kernel_cg_group_partition_staticILj4EEvPibS0_,@function
_Z32kernel_cg_group_partition_staticILj4EEvPibS0_: ; @_Z32kernel_cg_group_partition_staticILj4EEvPibS0_
; %bb.0:
	s_mov_b64 s[2:3], src_shared_base
	s_clause 0x1
	s_load_b64 s[4:5], s[0:1], 0x24
	s_load_b32 s2, s[0:1], 0x8
	v_bfe_u32 v1, v0, 10, 10
	v_bfe_u32 v2, v0, 20, 10
	s_load_b64 s[6:7], s[0:1], 0x10
	v_and_b32_e32 v0, 0x3ff, v0
	s_wait_kmcnt 0x0
	s_lshr_b32 s8, s4, 16
	s_and_b32 s4, s4, 0xffff
	v_mad_u32_u24 v1, v2, s8, v1
	s_and_b32 s2, 1, s2
	s_and_b32 s5, s5, 0xffff
	s_cmp_lg_u32 0, -1
	s_mul_i32 s20, s8, s4
	v_mad_co_u64_u32 v[26:27], null, v1, s4, v[0:1]
	s_cselect_b32 s9, 0, 0
	s_cselect_b32 s3, s3, 0
	s_cmp_eq_u32 s2, 1
	s_mul_i32 s20, s20, s5
	s_cselect_b32 s21, s7, s3
	s_wait_alu 0xfffe
	s_cselect_b32 s22, s6, s9
	v_dual_mov_b32 v31, v26 :: v_dual_mov_b32 v34, v26
	s_cmp_lt_u32 s20, 2
	s_mov_b32 s3, 0
	s_cbranch_scc1 .LBB3_6
; %bb.1:
	v_ashrrev_i32_e32 v27, 31, v26
	v_mov_b32_e32 v34, v31
	s_mov_b32 s4, s20
	s_delay_alu instid0(VALU_DEP_2) | instskip(NEXT) | instid1(VALU_DEP_1)
	v_lshlrev_b64_e32 v[0:1], 2, v[26:27]
	v_add_co_u32 v0, vcc_lo, s22, v0
	s_delay_alu instid0(VALU_DEP_1)
	v_add_co_ci_u32_e64 v1, null, s21, v1, vcc_lo
.LBB3_2:                                ; =>This Inner Loop Header: Depth=1
	s_wait_alu 0xfffe
	s_lshr_b32 s2, s4, 1
	s_mov_b32 s5, exec_lo
	flat_store_b32 v[0:1], v34
	s_wait_storecnt_dscnt 0x0
	s_barrier_signal -1
	s_barrier_wait -1
	global_inv scope:SCOPE_SE
	s_wait_alu 0xfffe
	v_cmpx_gt_i32_e64 s2, v26
	s_cbranch_execz .LBB3_4
; %bb.3:                                ;   in Loop: Header=BB3_2 Depth=1
	s_lshl_b64 s[6:7], s[2:3], 2
	s_wait_alu 0xfffe
	v_add_co_u32 v2, vcc_lo, v0, s6
	s_wait_alu 0xfffd
	v_add_co_ci_u32_e64 v3, null, s7, v1, vcc_lo
	flat_load_b32 v2, v[2:3]
	s_wait_loadcnt_dscnt 0x0
	v_add_nc_u32_e32 v34, v2, v34
.LBB3_4:                                ;   in Loop: Header=BB3_2 Depth=1
	s_wait_alu 0xfffe
	s_or_b32 exec_lo, exec_lo, s5
	s_cmp_gt_u32 s4, 3
	s_wait_loadcnt 0x0
	s_barrier_signal -1
	s_barrier_wait -1
	global_inv scope:SCOPE_SE
	s_cbranch_scc0 .LBB3_6
; %bb.5:                                ;   in Loop: Header=BB3_2 Depth=1
	s_mov_b32 s4, s2
	s_branch .LBB3_2
.LBB3_6:
	v_cmp_eq_u32_e64 s2, 0, v26
	s_add_nc_u64 s[4:5], s[0:1], 24
	s_and_saveexec_b32 s23, s2
	s_cbranch_execz .LBB3_400
; %bb.7:
	s_load_b64 s[6:7], s[4:5], 0x50
	v_mbcnt_lo_u32_b32 v33, -1, 0
	v_mov_b32_e32 v6, 0
	v_mov_b32_e32 v7, 0
	s_delay_alu instid0(VALU_DEP_3) | instskip(SKIP_1) | instid1(VALU_DEP_1)
	v_readfirstlane_b32 s3, v33
	s_wait_alu 0xf1ff
	v_cmp_eq_u32_e64 s3, s3, v33
	s_and_saveexec_b32 s8, s3
	s_cbranch_execz .LBB3_13
; %bb.8:
	v_mov_b32_e32 v0, 0
	s_mov_b32 s9, exec_lo
	s_wait_kmcnt 0x0
	global_load_b64 v[3:4], v0, s[6:7] offset:24 scope:SCOPE_SYS
	s_wait_loadcnt 0x0
	global_inv scope:SCOPE_SYS
	s_clause 0x1
	global_load_b64 v[1:2], v0, s[6:7] offset:40
	global_load_b64 v[5:6], v0, s[6:7]
	s_wait_loadcnt 0x1
	v_and_b32_e32 v2, v2, v4
	v_and_b32_e32 v1, v1, v3
	s_delay_alu instid0(VALU_DEP_2) | instskip(NEXT) | instid1(VALU_DEP_2)
	v_mul_lo_u32 v2, 24, v2
	v_mul_lo_u32 v7, 0, v1
	v_mul_hi_u32 v8, 24, v1
	v_mul_lo_u32 v1, 24, v1
	s_delay_alu instid0(VALU_DEP_3) | instskip(SKIP_1) | instid1(VALU_DEP_2)
	v_add_nc_u32_e32 v2, v2, v7
	s_wait_loadcnt 0x0
	v_add_co_u32 v1, vcc_lo, v5, v1
	s_delay_alu instid0(VALU_DEP_2) | instskip(SKIP_1) | instid1(VALU_DEP_1)
	v_add_nc_u32_e32 v2, v2, v8
	s_wait_alu 0xfffd
	v_add_co_ci_u32_e64 v2, null, v6, v2, vcc_lo
	global_load_b64 v[1:2], v[1:2], off scope:SCOPE_SYS
	s_wait_loadcnt 0x0
	global_atomic_cmpswap_b64 v[6:7], v0, v[1:4], s[6:7] offset:24 th:TH_ATOMIC_RETURN scope:SCOPE_SYS
	s_wait_loadcnt 0x0
	global_inv scope:SCOPE_SYS
	v_cmpx_ne_u64_e64 v[6:7], v[3:4]
	s_cbranch_execz .LBB3_12
; %bb.9:
	s_mov_b32 s10, 0
.LBB3_10:                               ; =>This Inner Loop Header: Depth=1
	s_sleep 1
	s_clause 0x1
	global_load_b64 v[1:2], v0, s[6:7] offset:40
	global_load_b64 v[8:9], v0, s[6:7]
	v_dual_mov_b32 v3, v6 :: v_dual_mov_b32 v4, v7
	s_wait_loadcnt 0x1
	s_delay_alu instid0(VALU_DEP_1) | instskip(NEXT) | instid1(VALU_DEP_2)
	v_and_b32_e32 v1, v1, v3
	v_and_b32_e32 v2, v2, v4
	s_wait_loadcnt 0x0
	s_delay_alu instid0(VALU_DEP_2) | instskip(NEXT) | instid1(VALU_DEP_1)
	v_mad_co_u64_u32 v[5:6], null, v1, 24, v[8:9]
	v_mov_b32_e32 v1, v6
	s_delay_alu instid0(VALU_DEP_1) | instskip(NEXT) | instid1(VALU_DEP_1)
	v_mad_co_u64_u32 v[1:2], null, v2, 24, v[1:2]
	v_mov_b32_e32 v6, v1
	global_load_b64 v[1:2], v[5:6], off scope:SCOPE_SYS
	s_wait_loadcnt 0x0
	global_atomic_cmpswap_b64 v[6:7], v0, v[1:4], s[6:7] offset:24 th:TH_ATOMIC_RETURN scope:SCOPE_SYS
	s_wait_loadcnt 0x0
	global_inv scope:SCOPE_SYS
	v_cmp_eq_u64_e32 vcc_lo, v[6:7], v[3:4]
	s_or_b32 s10, vcc_lo, s10
	s_delay_alu instid0(SALU_CYCLE_1)
	s_and_not1_b32 exec_lo, exec_lo, s10
	s_cbranch_execnz .LBB3_10
; %bb.11:
	s_or_b32 exec_lo, exec_lo, s10
.LBB3_12:
	s_wait_alu 0xfffe
	s_or_b32 exec_lo, exec_lo, s9
.LBB3_13:
	s_wait_alu 0xfffe
	s_or_b32 exec_lo, exec_lo, s8
	v_readfirstlane_b32 s8, v6
	v_mov_b32_e32 v5, 0
	v_readfirstlane_b32 s9, v7
	s_mov_b32 s10, exec_lo
	s_wait_kmcnt 0x0
	s_clause 0x1
	global_load_b64 v[8:9], v5, s[6:7] offset:40
	global_load_b128 v[0:3], v5, s[6:7]
	s_wait_loadcnt 0x1
	s_wait_alu 0xf1ff
	v_and_b32_e32 v11, s9, v9
	v_and_b32_e32 v10, s8, v8
	s_delay_alu instid0(VALU_DEP_2) | instskip(NEXT) | instid1(VALU_DEP_2)
	v_mul_lo_u32 v4, 24, v11
	v_mul_lo_u32 v6, 0, v10
	v_mul_hi_u32 v7, 24, v10
	v_mul_lo_u32 v8, 24, v10
	s_delay_alu instid0(VALU_DEP_3) | instskip(SKIP_1) | instid1(VALU_DEP_2)
	v_add_nc_u32_e32 v4, v4, v6
	s_wait_loadcnt 0x0
	v_add_co_u32 v8, vcc_lo, v0, v8
	s_delay_alu instid0(VALU_DEP_2) | instskip(SKIP_1) | instid1(VALU_DEP_1)
	v_add_nc_u32_e32 v4, v4, v7
	s_wait_alu 0xfffd
	v_add_co_ci_u32_e64 v9, null, v1, v4, vcc_lo
	s_and_saveexec_b32 s11, s3
	s_cbranch_execz .LBB3_15
; %bb.14:
	v_dual_mov_b32 v4, s10 :: v_dual_mov_b32 v7, 1
	v_mov_b32_e32 v6, 2
	global_store_b128 v[8:9], v[4:7], off offset:8
.LBB3_15:
	s_or_b32 exec_lo, exec_lo, s11
	v_lshlrev_b64_e32 v[10:11], 12, v[10:11]
	v_dual_mov_b32 v7, v5 :: v_dual_lshlrev_b32 v32, 6, v33
	s_mov_b32 s12, 0
	s_delay_alu instid0(SALU_CYCLE_1) | instskip(NEXT) | instid1(VALU_DEP_2)
	s_mov_b32 s13, s12
	v_add_co_u32 v2, vcc_lo, v2, v10
	s_wait_alu 0xfffd
	v_add_co_ci_u32_e64 v3, null, v3, v11, vcc_lo
	s_mov_b32 s14, s12
	v_add_co_u32 v10, vcc_lo, v2, v32
	s_mov_b32 s15, s12
	v_mov_b32_e32 v4, 33
	v_mov_b32_e32 v6, v5
	v_readfirstlane_b32 s10, v2
	v_readfirstlane_b32 s11, v3
	v_mov_b32_e32 v12, s12
	s_wait_alu 0xfffd
	v_add_co_ci_u32_e64 v11, null, 0, v3, vcc_lo
	v_dual_mov_b32 v13, s13 :: v_dual_mov_b32 v14, s14
	v_mov_b32_e32 v15, s15
	s_clause 0x3
	global_store_b128 v32, v[4:7], s[10:11]
	global_store_b128 v32, v[12:15], s[10:11] offset:16
	global_store_b128 v32, v[12:15], s[10:11] offset:32
	;; [unrolled: 1-line block ×3, first 2 shown]
	s_and_saveexec_b32 s10, s3
	s_cbranch_execz .LBB3_22
; %bb.16:
	v_mov_b32_e32 v6, 0
	s_mov_b32 s11, exec_lo
	s_clause 0x1
	global_load_b64 v[14:15], v6, s[6:7] offset:32 scope:SCOPE_SYS
	global_load_b64 v[2:3], v6, s[6:7] offset:40
	v_dual_mov_b32 v13, s9 :: v_dual_mov_b32 v12, s8
	s_wait_loadcnt 0x0
	v_and_b32_e32 v3, s9, v3
	v_and_b32_e32 v2, s8, v2
	s_delay_alu instid0(VALU_DEP_2) | instskip(NEXT) | instid1(VALU_DEP_2)
	v_mul_lo_u32 v3, 24, v3
	v_mul_lo_u32 v4, 0, v2
	v_mul_hi_u32 v5, 24, v2
	v_mul_lo_u32 v2, 24, v2
	s_delay_alu instid0(VALU_DEP_3) | instskip(NEXT) | instid1(VALU_DEP_2)
	v_add_nc_u32_e32 v3, v3, v4
	v_add_co_u32 v4, vcc_lo, v0, v2
	s_delay_alu instid0(VALU_DEP_2) | instskip(SKIP_1) | instid1(VALU_DEP_1)
	v_add_nc_u32_e32 v3, v3, v5
	s_wait_alu 0xfffd
	v_add_co_ci_u32_e64 v5, null, v1, v3, vcc_lo
	global_store_b64 v[4:5], v[14:15], off
	global_wb scope:SCOPE_SYS
	s_wait_storecnt 0x0
	global_atomic_cmpswap_b64 v[2:3], v6, v[12:15], s[6:7] offset:32 th:TH_ATOMIC_RETURN scope:SCOPE_SYS
	s_wait_loadcnt 0x0
	v_cmpx_ne_u64_e64 v[2:3], v[14:15]
	s_cbranch_execz .LBB3_18
.LBB3_17:                               ; =>This Inner Loop Header: Depth=1
	v_dual_mov_b32 v0, s8 :: v_dual_mov_b32 v1, s9
	s_sleep 1
	global_store_b64 v[4:5], v[2:3], off
	global_wb scope:SCOPE_SYS
	s_wait_storecnt 0x0
	global_atomic_cmpswap_b64 v[0:1], v6, v[0:3], s[6:7] offset:32 th:TH_ATOMIC_RETURN scope:SCOPE_SYS
	s_wait_loadcnt 0x0
	v_cmp_eq_u64_e32 vcc_lo, v[0:1], v[2:3]
	v_dual_mov_b32 v3, v1 :: v_dual_mov_b32 v2, v0
	s_or_b32 s12, vcc_lo, s12
	s_wait_alu 0xfffe
	s_and_not1_b32 exec_lo, exec_lo, s12
	s_cbranch_execnz .LBB3_17
.LBB3_18:
	s_wait_alu 0xfffe
	s_or_b32 exec_lo, exec_lo, s11
	v_mov_b32_e32 v3, 0
	s_mov_b32 s12, exec_lo
	s_mov_b32 s11, exec_lo
	s_wait_alu 0xfffe
	v_mbcnt_lo_u32_b32 v2, s12, 0
	global_load_b64 v[0:1], v3, s[6:7] offset:16
	v_cmpx_eq_u32_e32 0, v2
	s_cbranch_execz .LBB3_20
; %bb.19:
	s_bcnt1_i32_b32 s12, s12
	s_wait_alu 0xfffe
	v_mov_b32_e32 v2, s12
	global_wb scope:SCOPE_SYS
	s_wait_loadcnt 0x0
	s_wait_storecnt 0x0
	global_atomic_add_u64 v[0:1], v[2:3], off offset:8 scope:SCOPE_SYS
.LBB3_20:
	s_or_b32 exec_lo, exec_lo, s11
	s_wait_loadcnt 0x0
	global_load_b64 v[2:3], v[0:1], off offset:16
	s_wait_loadcnt 0x0
	v_cmp_eq_u64_e32 vcc_lo, 0, v[2:3]
	s_cbranch_vccnz .LBB3_22
; %bb.21:
	global_load_b32 v0, v[0:1], off offset:24
	v_mov_b32_e32 v1, 0
	s_wait_loadcnt 0x0
	v_readfirstlane_b32 s11, v0
	global_wb scope:SCOPE_SYS
	s_wait_storecnt 0x0
	global_store_b64 v[2:3], v[0:1], off scope:SCOPE_SYS
	s_and_b32 m0, s11, 0xffffff
	s_sendmsg sendmsg(MSG_INTERRUPT)
.LBB3_22:
	s_wait_alu 0xfffe
	s_or_b32 exec_lo, exec_lo, s10
	s_branch .LBB3_26
.LBB3_23:                               ;   in Loop: Header=BB3_26 Depth=1
	s_wait_alu 0xfffe
	s_or_b32 exec_lo, exec_lo, s10
	s_delay_alu instid0(VALU_DEP_1)
	v_readfirstlane_b32 s10, v0
	s_cmp_eq_u32 s10, 0
	s_cbranch_scc1 .LBB3_25
; %bb.24:                               ;   in Loop: Header=BB3_26 Depth=1
	s_sleep 1
	s_cbranch_execnz .LBB3_26
	s_branch .LBB3_28
.LBB3_25:
	s_branch .LBB3_28
.LBB3_26:                               ; =>This Inner Loop Header: Depth=1
	v_mov_b32_e32 v0, 1
	s_and_saveexec_b32 s10, s3
	s_cbranch_execz .LBB3_23
; %bb.27:                               ;   in Loop: Header=BB3_26 Depth=1
	global_load_b32 v0, v[8:9], off offset:20 scope:SCOPE_SYS
	s_wait_loadcnt 0x0
	global_inv scope:SCOPE_SYS
	v_and_b32_e32 v0, 1, v0
	s_branch .LBB3_23
.LBB3_28:
	global_load_b64 v[0:1], v[10:11], off
	s_and_saveexec_b32 s10, s3
	s_cbranch_execz .LBB3_32
; %bb.29:
	v_mov_b32_e32 v8, 0
	s_clause 0x2
	global_load_b64 v[2:3], v8, s[6:7] offset:40
	global_load_b64 v[11:12], v8, s[6:7] offset:24 scope:SCOPE_SYS
	global_load_b64 v[4:5], v8, s[6:7]
	s_wait_loadcnt 0x2
	v_readfirstlane_b32 s12, v2
	v_readfirstlane_b32 s13, v3
	s_add_nc_u64 s[14:15], s[12:13], 1
	s_wait_alu 0xfffe
	s_add_nc_u64 s[8:9], s[14:15], s[8:9]
	s_wait_alu 0xfffe
	s_cmp_eq_u64 s[8:9], 0
	s_cselect_b32 s9, s15, s9
	s_cselect_b32 s8, s14, s8
	s_wait_alu 0xfffe
	v_mov_b32_e32 v10, s9
	s_and_b64 s[12:13], s[8:9], s[12:13]
	v_mov_b32_e32 v9, s8
	s_wait_alu 0xfffe
	s_mul_u64 s[12:13], s[12:13], 24
	s_wait_loadcnt 0x0
	s_wait_alu 0xfffe
	v_add_co_u32 v6, vcc_lo, v4, s12
	s_wait_alu 0xfffd
	v_add_co_ci_u32_e64 v7, null, s13, v5, vcc_lo
	global_store_b64 v[6:7], v[11:12], off
	global_wb scope:SCOPE_SYS
	s_wait_storecnt 0x0
	global_atomic_cmpswap_b64 v[4:5], v8, v[9:12], s[6:7] offset:24 th:TH_ATOMIC_RETURN scope:SCOPE_SYS
	s_wait_loadcnt 0x0
	v_cmp_ne_u64_e32 vcc_lo, v[4:5], v[11:12]
	s_and_b32 exec_lo, exec_lo, vcc_lo
	s_cbranch_execz .LBB3_32
; %bb.30:
	s_mov_b32 s3, 0
.LBB3_31:                               ; =>This Inner Loop Header: Depth=1
	v_dual_mov_b32 v2, s8 :: v_dual_mov_b32 v3, s9
	s_sleep 1
	global_store_b64 v[6:7], v[4:5], off
	global_wb scope:SCOPE_SYS
	s_wait_storecnt 0x0
	global_atomic_cmpswap_b64 v[2:3], v8, v[2:5], s[6:7] offset:24 th:TH_ATOMIC_RETURN scope:SCOPE_SYS
	s_wait_loadcnt 0x0
	v_cmp_eq_u64_e32 vcc_lo, v[2:3], v[4:5]
	v_dual_mov_b32 v5, v3 :: v_dual_mov_b32 v4, v2
	s_wait_alu 0xfffe
	s_or_b32 s3, vcc_lo, s3
	s_wait_alu 0xfffe
	s_and_not1_b32 exec_lo, exec_lo, s3
	s_cbranch_execnz .LBB3_31
.LBB3_32:
	s_wait_alu 0xfffe
	s_or_b32 exec_lo, exec_lo, s10
	s_getpc_b64 s[8:9]
	s_wait_alu 0xfffe
	s_sext_i32_i16 s9, s9
	s_add_co_u32 s8, s8, .str.8@rel32@lo+12
	s_wait_alu 0xfffe
	s_add_co_ci_u32 s9, s9, .str.8@rel32@hi+24
	s_wait_alu 0xfffe
	s_cmp_lg_u64 s[8:9], 0
	s_cbranch_scc0 .LBB3_111
; %bb.33:
	s_wait_loadcnt 0x0
	v_dual_mov_b32 v8, 2 :: v_dual_and_b32 v35, 2, v0
	v_dual_mov_b32 v7, 0 :: v_dual_and_b32 v2, -3, v0
	v_mov_b32_e32 v3, v1
	v_mov_b32_e32 v9, 1
	s_mov_b64 s[10:11], 0x4d
	s_branch .LBB3_35
.LBB3_34:                               ;   in Loop: Header=BB3_35 Depth=1
	s_wait_alu 0xfffe
	s_or_b32 exec_lo, exec_lo, s16
	s_sub_nc_u64 s[10:11], s[10:11], s[12:13]
	s_add_nc_u64 s[8:9], s[8:9], s[12:13]
	s_wait_alu 0xfffe
	s_cmp_lg_u64 s[10:11], 0
	s_cbranch_scc0 .LBB3_110
.LBB3_35:                               ; =>This Loop Header: Depth=1
                                        ;     Child Loop BB3_38 Depth 2
                                        ;     Child Loop BB3_45 Depth 2
	;; [unrolled: 1-line block ×11, first 2 shown]
	s_wait_alu 0xfffe
	v_cmp_lt_u64_e64 s3, s[10:11], 56
	v_cmp_gt_u64_e64 s14, s[10:11], 7
	s_and_b32 s3, s3, exec_lo
	s_cselect_b32 s13, s11, 0
	s_cselect_b32 s12, s10, 56
	s_and_b32 vcc_lo, exec_lo, s14
	s_wait_alu 0xfffe
	s_cbranch_vccnz .LBB3_40
; %bb.36:                               ;   in Loop: Header=BB3_35 Depth=1
	v_mov_b32_e32 v4, 0
	v_mov_b32_e32 v5, 0
	s_cmp_eq_u64 s[10:11], 0
	s_cbranch_scc1 .LBB3_39
; %bb.37:                               ;   in Loop: Header=BB3_35 Depth=1
	s_mov_b64 s[14:15], 0
	s_mov_b64 s[16:17], 0
.LBB3_38:                               ;   Parent Loop BB3_35 Depth=1
                                        ; =>  This Inner Loop Header: Depth=2
	s_wait_alu 0xfffe
	s_add_nc_u64 s[18:19], s[8:9], s[16:17]
	s_add_nc_u64 s[16:17], s[16:17], 1
	global_load_u8 v6, v7, s[18:19]
	s_wait_alu 0xfffe
	s_cmp_lg_u32 s12, s16
	s_wait_loadcnt 0x0
	v_and_b32_e32 v6, 0xffff, v6
	s_delay_alu instid0(VALU_DEP_1) | instskip(SKIP_1) | instid1(VALU_DEP_1)
	v_lshlrev_b64_e32 v[10:11], s14, v[6:7]
	s_add_nc_u64 s[14:15], s[14:15], 8
	v_or_b32_e32 v4, v10, v4
	s_delay_alu instid0(VALU_DEP_2)
	v_or_b32_e32 v5, v11, v5
	s_cbranch_scc1 .LBB3_38
.LBB3_39:                               ;   in Loop: Header=BB3_35 Depth=1
	s_mov_b64 s[16:17], s[8:9]
	s_mov_b32 s3, 0
	s_cbranch_execz .LBB3_41
	s_branch .LBB3_42
.LBB3_40:                               ;   in Loop: Header=BB3_35 Depth=1
	s_add_nc_u64 s[16:17], s[8:9], 8
	s_mov_b32 s3, 0
.LBB3_41:                               ;   in Loop: Header=BB3_35 Depth=1
	global_load_b64 v[4:5], v7, s[8:9]
	s_add_co_i32 s3, s12, -8
.LBB3_42:                               ;   in Loop: Header=BB3_35 Depth=1
	s_wait_alu 0xfffe
	s_cmp_gt_u32 s3, 7
	s_cbranch_scc1 .LBB3_47
; %bb.43:                               ;   in Loop: Header=BB3_35 Depth=1
	v_mov_b32_e32 v10, 0
	v_mov_b32_e32 v11, 0
	s_cmp_eq_u32 s3, 0
	s_cbranch_scc1 .LBB3_46
; %bb.44:                               ;   in Loop: Header=BB3_35 Depth=1
	s_mov_b64 s[14:15], 0
	s_mov_b64 s[18:19], 0
.LBB3_45:                               ;   Parent Loop BB3_35 Depth=1
                                        ; =>  This Inner Loop Header: Depth=2
	s_wait_alu 0xfffe
	s_add_nc_u64 s[24:25], s[16:17], s[18:19]
	s_add_nc_u64 s[18:19], s[18:19], 1
	global_load_u8 v6, v7, s[24:25]
	s_wait_alu 0xfffe
	s_cmp_lg_u32 s3, s18
	s_wait_loadcnt 0x0
	v_and_b32_e32 v6, 0xffff, v6
	s_delay_alu instid0(VALU_DEP_1) | instskip(SKIP_1) | instid1(VALU_DEP_1)
	v_lshlrev_b64_e32 v[12:13], s14, v[6:7]
	s_add_nc_u64 s[14:15], s[14:15], 8
	v_or_b32_e32 v10, v12, v10
	s_delay_alu instid0(VALU_DEP_2)
	v_or_b32_e32 v11, v13, v11
	s_cbranch_scc1 .LBB3_45
.LBB3_46:                               ;   in Loop: Header=BB3_35 Depth=1
	s_mov_b64 s[14:15], s[16:17]
	s_mov_b32 s24, 0
	s_cbranch_execz .LBB3_48
	s_branch .LBB3_49
.LBB3_47:                               ;   in Loop: Header=BB3_35 Depth=1
	s_add_nc_u64 s[14:15], s[16:17], 8
                                        ; implicit-def: $vgpr10_vgpr11
	s_mov_b32 s24, 0
.LBB3_48:                               ;   in Loop: Header=BB3_35 Depth=1
	global_load_b64 v[10:11], v7, s[16:17]
	s_add_co_i32 s24, s3, -8
.LBB3_49:                               ;   in Loop: Header=BB3_35 Depth=1
	s_delay_alu instid0(SALU_CYCLE_1)
	s_cmp_gt_u32 s24, 7
	s_cbranch_scc1 .LBB3_54
; %bb.50:                               ;   in Loop: Header=BB3_35 Depth=1
	v_mov_b32_e32 v12, 0
	v_mov_b32_e32 v13, 0
	s_cmp_eq_u32 s24, 0
	s_cbranch_scc1 .LBB3_53
; %bb.51:                               ;   in Loop: Header=BB3_35 Depth=1
	s_mov_b64 s[16:17], 0
	s_mov_b64 s[18:19], 0
.LBB3_52:                               ;   Parent Loop BB3_35 Depth=1
                                        ; =>  This Inner Loop Header: Depth=2
	s_wait_alu 0xfffe
	s_add_nc_u64 s[26:27], s[14:15], s[18:19]
	s_add_nc_u64 s[18:19], s[18:19], 1
	global_load_u8 v6, v7, s[26:27]
	s_wait_alu 0xfffe
	s_cmp_lg_u32 s24, s18
	s_wait_loadcnt 0x0
	v_and_b32_e32 v6, 0xffff, v6
	s_delay_alu instid0(VALU_DEP_1) | instskip(SKIP_1) | instid1(VALU_DEP_1)
	v_lshlrev_b64_e32 v[14:15], s16, v[6:7]
	s_add_nc_u64 s[16:17], s[16:17], 8
	v_or_b32_e32 v12, v14, v12
	s_delay_alu instid0(VALU_DEP_2)
	v_or_b32_e32 v13, v15, v13
	s_cbranch_scc1 .LBB3_52
.LBB3_53:                               ;   in Loop: Header=BB3_35 Depth=1
	s_wait_alu 0xfffe
	s_mov_b64 s[16:17], s[14:15]
	s_mov_b32 s3, 0
	s_cbranch_execz .LBB3_55
	s_branch .LBB3_56
.LBB3_54:                               ;   in Loop: Header=BB3_35 Depth=1
	s_wait_alu 0xfffe
	s_add_nc_u64 s[16:17], s[14:15], 8
	s_mov_b32 s3, 0
.LBB3_55:                               ;   in Loop: Header=BB3_35 Depth=1
	global_load_b64 v[12:13], v7, s[14:15]
	s_add_co_i32 s3, s24, -8
.LBB3_56:                               ;   in Loop: Header=BB3_35 Depth=1
	s_wait_alu 0xfffe
	s_cmp_gt_u32 s3, 7
	s_cbranch_scc1 .LBB3_61
; %bb.57:                               ;   in Loop: Header=BB3_35 Depth=1
	v_mov_b32_e32 v14, 0
	v_mov_b32_e32 v15, 0
	s_cmp_eq_u32 s3, 0
	s_cbranch_scc1 .LBB3_60
; %bb.58:                               ;   in Loop: Header=BB3_35 Depth=1
	s_mov_b64 s[14:15], 0
	s_mov_b64 s[18:19], 0
.LBB3_59:                               ;   Parent Loop BB3_35 Depth=1
                                        ; =>  This Inner Loop Header: Depth=2
	s_wait_alu 0xfffe
	s_add_nc_u64 s[24:25], s[16:17], s[18:19]
	s_add_nc_u64 s[18:19], s[18:19], 1
	global_load_u8 v6, v7, s[24:25]
	s_wait_alu 0xfffe
	s_cmp_lg_u32 s3, s18
	s_wait_loadcnt 0x0
	v_and_b32_e32 v6, 0xffff, v6
	s_delay_alu instid0(VALU_DEP_1) | instskip(SKIP_1) | instid1(VALU_DEP_1)
	v_lshlrev_b64_e32 v[16:17], s14, v[6:7]
	s_add_nc_u64 s[14:15], s[14:15], 8
	v_or_b32_e32 v14, v16, v14
	s_delay_alu instid0(VALU_DEP_2)
	v_or_b32_e32 v15, v17, v15
	s_cbranch_scc1 .LBB3_59
.LBB3_60:                               ;   in Loop: Header=BB3_35 Depth=1
	s_mov_b64 s[14:15], s[16:17]
	s_mov_b32 s24, 0
	s_cbranch_execz .LBB3_62
	s_branch .LBB3_63
.LBB3_61:                               ;   in Loop: Header=BB3_35 Depth=1
	s_add_nc_u64 s[14:15], s[16:17], 8
                                        ; implicit-def: $vgpr14_vgpr15
	s_mov_b32 s24, 0
.LBB3_62:                               ;   in Loop: Header=BB3_35 Depth=1
	global_load_b64 v[14:15], v7, s[16:17]
	s_add_co_i32 s24, s3, -8
.LBB3_63:                               ;   in Loop: Header=BB3_35 Depth=1
	s_delay_alu instid0(SALU_CYCLE_1)
	s_cmp_gt_u32 s24, 7
	s_cbranch_scc1 .LBB3_68
; %bb.64:                               ;   in Loop: Header=BB3_35 Depth=1
	v_mov_b32_e32 v16, 0
	v_mov_b32_e32 v17, 0
	s_cmp_eq_u32 s24, 0
	s_cbranch_scc1 .LBB3_67
; %bb.65:                               ;   in Loop: Header=BB3_35 Depth=1
	s_mov_b64 s[16:17], 0
	s_mov_b64 s[18:19], 0
.LBB3_66:                               ;   Parent Loop BB3_35 Depth=1
                                        ; =>  This Inner Loop Header: Depth=2
	s_wait_alu 0xfffe
	s_add_nc_u64 s[26:27], s[14:15], s[18:19]
	s_add_nc_u64 s[18:19], s[18:19], 1
	global_load_u8 v6, v7, s[26:27]
	s_wait_alu 0xfffe
	s_cmp_lg_u32 s24, s18
	s_wait_loadcnt 0x0
	v_and_b32_e32 v6, 0xffff, v6
	s_delay_alu instid0(VALU_DEP_1) | instskip(SKIP_1) | instid1(VALU_DEP_1)
	v_lshlrev_b64_e32 v[18:19], s16, v[6:7]
	s_add_nc_u64 s[16:17], s[16:17], 8
	v_or_b32_e32 v16, v18, v16
	s_delay_alu instid0(VALU_DEP_2)
	v_or_b32_e32 v17, v19, v17
	s_cbranch_scc1 .LBB3_66
.LBB3_67:                               ;   in Loop: Header=BB3_35 Depth=1
	s_wait_alu 0xfffe
	s_mov_b64 s[16:17], s[14:15]
	s_mov_b32 s3, 0
	s_cbranch_execz .LBB3_69
	s_branch .LBB3_70
.LBB3_68:                               ;   in Loop: Header=BB3_35 Depth=1
	s_wait_alu 0xfffe
	s_add_nc_u64 s[16:17], s[14:15], 8
	s_mov_b32 s3, 0
.LBB3_69:                               ;   in Loop: Header=BB3_35 Depth=1
	global_load_b64 v[16:17], v7, s[14:15]
	s_add_co_i32 s3, s24, -8
.LBB3_70:                               ;   in Loop: Header=BB3_35 Depth=1
	s_wait_alu 0xfffe
	s_cmp_gt_u32 s3, 7
	s_cbranch_scc1 .LBB3_75
; %bb.71:                               ;   in Loop: Header=BB3_35 Depth=1
	v_mov_b32_e32 v18, 0
	v_mov_b32_e32 v19, 0
	s_cmp_eq_u32 s3, 0
	s_cbranch_scc1 .LBB3_74
; %bb.72:                               ;   in Loop: Header=BB3_35 Depth=1
	s_mov_b64 s[14:15], 0
	s_mov_b64 s[18:19], 0
.LBB3_73:                               ;   Parent Loop BB3_35 Depth=1
                                        ; =>  This Inner Loop Header: Depth=2
	s_wait_alu 0xfffe
	s_add_nc_u64 s[24:25], s[16:17], s[18:19]
	s_add_nc_u64 s[18:19], s[18:19], 1
	global_load_u8 v6, v7, s[24:25]
	s_wait_alu 0xfffe
	s_cmp_lg_u32 s3, s18
	s_wait_loadcnt 0x0
	v_and_b32_e32 v6, 0xffff, v6
	s_delay_alu instid0(VALU_DEP_1) | instskip(SKIP_1) | instid1(VALU_DEP_1)
	v_lshlrev_b64_e32 v[20:21], s14, v[6:7]
	s_add_nc_u64 s[14:15], s[14:15], 8
	v_or_b32_e32 v18, v20, v18
	s_delay_alu instid0(VALU_DEP_2)
	v_or_b32_e32 v19, v21, v19
	s_cbranch_scc1 .LBB3_73
.LBB3_74:                               ;   in Loop: Header=BB3_35 Depth=1
	s_mov_b64 s[14:15], s[16:17]
	s_mov_b32 s24, 0
	s_cbranch_execz .LBB3_76
	s_branch .LBB3_77
.LBB3_75:                               ;   in Loop: Header=BB3_35 Depth=1
	s_add_nc_u64 s[14:15], s[16:17], 8
                                        ; implicit-def: $vgpr18_vgpr19
	s_mov_b32 s24, 0
.LBB3_76:                               ;   in Loop: Header=BB3_35 Depth=1
	global_load_b64 v[18:19], v7, s[16:17]
	s_add_co_i32 s24, s3, -8
.LBB3_77:                               ;   in Loop: Header=BB3_35 Depth=1
	s_delay_alu instid0(SALU_CYCLE_1)
	s_cmp_gt_u32 s24, 7
	s_cbranch_scc1 .LBB3_82
; %bb.78:                               ;   in Loop: Header=BB3_35 Depth=1
	v_mov_b32_e32 v20, 0
	v_mov_b32_e32 v21, 0
	s_cmp_eq_u32 s24, 0
	s_cbranch_scc1 .LBB3_81
; %bb.79:                               ;   in Loop: Header=BB3_35 Depth=1
	s_mov_b64 s[16:17], 0
	s_wait_alu 0xfffe
	s_mov_b64 s[18:19], s[14:15]
.LBB3_80:                               ;   Parent Loop BB3_35 Depth=1
                                        ; =>  This Inner Loop Header: Depth=2
	global_load_u8 v6, v7, s[18:19]
	s_add_co_i32 s24, s24, -1
	s_wait_alu 0xfffe
	s_add_nc_u64 s[18:19], s[18:19], 1
	s_cmp_lg_u32 s24, 0
	s_wait_loadcnt 0x0
	v_and_b32_e32 v6, 0xffff, v6
	s_delay_alu instid0(VALU_DEP_1) | instskip(SKIP_1) | instid1(VALU_DEP_1)
	v_lshlrev_b64_e32 v[22:23], s16, v[6:7]
	s_add_nc_u64 s[16:17], s[16:17], 8
	v_or_b32_e32 v20, v22, v20
	s_delay_alu instid0(VALU_DEP_2)
	v_or_b32_e32 v21, v23, v21
	s_cbranch_scc1 .LBB3_80
.LBB3_81:                               ;   in Loop: Header=BB3_35 Depth=1
	s_cbranch_execz .LBB3_83
	s_branch .LBB3_84
.LBB3_82:                               ;   in Loop: Header=BB3_35 Depth=1
.LBB3_83:                               ;   in Loop: Header=BB3_35 Depth=1
	global_load_b64 v[20:21], v7, s[14:15]
.LBB3_84:                               ;   in Loop: Header=BB3_35 Depth=1
	v_readfirstlane_b32 s3, v33
	v_mov_b32_e32 v27, 0
	v_mov_b32_e32 v28, 0
	s_wait_alu 0xf1ff
	s_delay_alu instid0(VALU_DEP_3)
	v_cmp_eq_u32_e64 s3, s3, v33
	s_and_saveexec_b32 s14, s3
	s_cbranch_execz .LBB3_90
; %bb.85:                               ;   in Loop: Header=BB3_35 Depth=1
	global_load_b64 v[24:25], v7, s[6:7] offset:24 scope:SCOPE_SYS
	s_wait_loadcnt 0x0
	global_inv scope:SCOPE_SYS
	s_clause 0x1
	global_load_b64 v[22:23], v7, s[6:7] offset:40
	global_load_b64 v[27:28], v7, s[6:7]
	s_mov_b32 s15, exec_lo
	s_wait_loadcnt 0x1
	v_and_b32_e32 v6, v23, v25
	v_and_b32_e32 v22, v22, v24
	s_delay_alu instid0(VALU_DEP_2) | instskip(NEXT) | instid1(VALU_DEP_2)
	v_mul_lo_u32 v6, 24, v6
	v_mul_lo_u32 v23, 0, v22
	v_mul_hi_u32 v29, 24, v22
	v_mul_lo_u32 v22, 24, v22
	s_delay_alu instid0(VALU_DEP_3) | instskip(SKIP_1) | instid1(VALU_DEP_2)
	v_add_nc_u32_e32 v6, v6, v23
	s_wait_loadcnt 0x0
	v_add_co_u32 v22, vcc_lo, v27, v22
	s_delay_alu instid0(VALU_DEP_2) | instskip(SKIP_1) | instid1(VALU_DEP_1)
	v_add_nc_u32_e32 v6, v6, v29
	s_wait_alu 0xfffd
	v_add_co_ci_u32_e64 v23, null, v28, v6, vcc_lo
	global_load_b64 v[22:23], v[22:23], off scope:SCOPE_SYS
	s_wait_loadcnt 0x0
	global_atomic_cmpswap_b64 v[27:28], v7, v[22:25], s[6:7] offset:24 th:TH_ATOMIC_RETURN scope:SCOPE_SYS
	s_wait_loadcnt 0x0
	global_inv scope:SCOPE_SYS
	v_cmpx_ne_u64_e64 v[27:28], v[24:25]
	s_cbranch_execz .LBB3_89
; %bb.86:                               ;   in Loop: Header=BB3_35 Depth=1
	s_mov_b32 s16, 0
.LBB3_87:                               ;   Parent Loop BB3_35 Depth=1
                                        ; =>  This Inner Loop Header: Depth=2
	s_sleep 1
	s_clause 0x1
	global_load_b64 v[22:23], v7, s[6:7] offset:40
	global_load_b64 v[29:30], v7, s[6:7]
	v_dual_mov_b32 v24, v27 :: v_dual_mov_b32 v25, v28
	s_wait_loadcnt 0x1
	s_delay_alu instid0(VALU_DEP_1) | instskip(NEXT) | instid1(VALU_DEP_2)
	v_and_b32_e32 v6, v22, v24
	v_and_b32_e32 v22, v23, v25
	s_wait_loadcnt 0x0
	s_delay_alu instid0(VALU_DEP_2) | instskip(NEXT) | instid1(VALU_DEP_1)
	v_mad_co_u64_u32 v[27:28], null, v6, 24, v[29:30]
	v_mov_b32_e32 v6, v28
	s_delay_alu instid0(VALU_DEP_1) | instskip(NEXT) | instid1(VALU_DEP_1)
	v_mad_co_u64_u32 v[22:23], null, v22, 24, v[6:7]
	v_mov_b32_e32 v28, v22
	global_load_b64 v[22:23], v[27:28], off scope:SCOPE_SYS
	s_wait_loadcnt 0x0
	global_atomic_cmpswap_b64 v[27:28], v7, v[22:25], s[6:7] offset:24 th:TH_ATOMIC_RETURN scope:SCOPE_SYS
	s_wait_loadcnt 0x0
	global_inv scope:SCOPE_SYS
	v_cmp_eq_u64_e32 vcc_lo, v[27:28], v[24:25]
	s_wait_alu 0xfffe
	s_or_b32 s16, vcc_lo, s16
	s_wait_alu 0xfffe
	s_and_not1_b32 exec_lo, exec_lo, s16
	s_cbranch_execnz .LBB3_87
; %bb.88:                               ;   in Loop: Header=BB3_35 Depth=1
	s_or_b32 exec_lo, exec_lo, s16
.LBB3_89:                               ;   in Loop: Header=BB3_35 Depth=1
	s_wait_alu 0xfffe
	s_or_b32 exec_lo, exec_lo, s15
.LBB3_90:                               ;   in Loop: Header=BB3_35 Depth=1
	s_wait_alu 0xfffe
	s_or_b32 exec_lo, exec_lo, s14
	s_clause 0x1
	global_load_b64 v[29:30], v7, s[6:7] offset:40
	global_load_b128 v[22:25], v7, s[6:7]
	v_readfirstlane_b32 s15, v28
	v_readfirstlane_b32 s14, v27
	s_mov_b32 s16, exec_lo
	s_wait_loadcnt 0x1
	s_wait_alu 0xf1ff
	v_and_b32_e32 v30, s15, v30
	v_and_b32_e32 v29, s14, v29
	s_delay_alu instid0(VALU_DEP_2) | instskip(NEXT) | instid1(VALU_DEP_2)
	v_mul_lo_u32 v6, 24, v30
	v_mul_lo_u32 v27, 0, v29
	v_mul_hi_u32 v28, 24, v29
	v_mul_lo_u32 v36, 24, v29
	s_delay_alu instid0(VALU_DEP_3) | instskip(SKIP_1) | instid1(VALU_DEP_2)
	v_add_nc_u32_e32 v6, v6, v27
	s_wait_loadcnt 0x0
	v_add_co_u32 v27, vcc_lo, v22, v36
	s_delay_alu instid0(VALU_DEP_2) | instskip(SKIP_1) | instid1(VALU_DEP_1)
	v_add_nc_u32_e32 v6, v6, v28
	s_wait_alu 0xfffd
	v_add_co_ci_u32_e64 v28, null, v23, v6, vcc_lo
	s_and_saveexec_b32 s17, s3
	s_cbranch_execz .LBB3_92
; %bb.91:                               ;   in Loop: Header=BB3_35 Depth=1
	s_wait_alu 0xfffe
	v_mov_b32_e32 v6, s16
	global_store_b128 v[27:28], v[6:9], off offset:8
.LBB3_92:                               ;   in Loop: Header=BB3_35 Depth=1
	s_wait_alu 0xfffe
	s_or_b32 exec_lo, exec_lo, s17
	v_cmp_lt_u64_e64 vcc_lo, s[10:11], 57
	v_lshlrev_b64_e32 v[29:30], 12, v[29:30]
	v_and_b32_e32 v2, 0xffffff1f, v2
	s_lshl_b32 s16, s12, 2
	s_wait_alu 0xfffe
	s_add_co_i32 s16, s16, 28
	s_wait_alu 0xfffd
	v_cndmask_b32_e32 v6, 0, v35, vcc_lo
	v_add_co_u32 v24, vcc_lo, v24, v29
	s_wait_alu 0xfffd
	v_add_co_ci_u32_e64 v25, null, v25, v30, vcc_lo
	s_delay_alu instid0(VALU_DEP_3) | instskip(NEXT) | instid1(VALU_DEP_2)
	v_or_b32_e32 v2, v2, v6
	v_readfirstlane_b32 s17, v25
	s_wait_alu 0xfffe
	s_delay_alu instid0(VALU_DEP_2)
	v_and_or_b32 v2, 0x1e0, s16, v2
	v_readfirstlane_b32 s16, v24
	s_clause 0x3
	global_store_b128 v32, v[2:5], s[16:17]
	global_store_b128 v32, v[10:13], s[16:17] offset:16
	global_store_b128 v32, v[14:17], s[16:17] offset:32
	;; [unrolled: 1-line block ×3, first 2 shown]
	s_and_saveexec_b32 s16, s3
	s_cbranch_execz .LBB3_100
; %bb.93:                               ;   in Loop: Header=BB3_35 Depth=1
	s_clause 0x1
	global_load_b64 v[14:15], v7, s[6:7] offset:32 scope:SCOPE_SYS
	global_load_b64 v[2:3], v7, s[6:7] offset:40
	s_mov_b32 s17, exec_lo
	v_dual_mov_b32 v12, s14 :: v_dual_mov_b32 v13, s15
	s_wait_loadcnt 0x0
	v_and_b32_e32 v2, s14, v2
	v_and_b32_e32 v3, s15, v3
	s_delay_alu instid0(VALU_DEP_2) | instskip(NEXT) | instid1(VALU_DEP_2)
	v_mul_lo_u32 v4, 0, v2
	v_mul_lo_u32 v3, 24, v3
	v_mul_hi_u32 v5, 24, v2
	v_mul_lo_u32 v2, 24, v2
	s_delay_alu instid0(VALU_DEP_3) | instskip(NEXT) | instid1(VALU_DEP_2)
	v_add_nc_u32_e32 v3, v3, v4
	v_add_co_u32 v10, vcc_lo, v22, v2
	s_delay_alu instid0(VALU_DEP_2) | instskip(SKIP_1) | instid1(VALU_DEP_1)
	v_add_nc_u32_e32 v3, v3, v5
	s_wait_alu 0xfffd
	v_add_co_ci_u32_e64 v11, null, v23, v3, vcc_lo
	global_store_b64 v[10:11], v[14:15], off
	global_wb scope:SCOPE_SYS
	s_wait_storecnt 0x0
	global_atomic_cmpswap_b64 v[4:5], v7, v[12:15], s[6:7] offset:32 th:TH_ATOMIC_RETURN scope:SCOPE_SYS
	s_wait_loadcnt 0x0
	v_cmpx_ne_u64_e64 v[4:5], v[14:15]
	s_cbranch_execz .LBB3_96
; %bb.94:                               ;   in Loop: Header=BB3_35 Depth=1
	s_mov_b32 s18, 0
.LBB3_95:                               ;   Parent Loop BB3_35 Depth=1
                                        ; =>  This Inner Loop Header: Depth=2
	v_dual_mov_b32 v2, s14 :: v_dual_mov_b32 v3, s15
	s_sleep 1
	global_store_b64 v[10:11], v[4:5], off
	global_wb scope:SCOPE_SYS
	s_wait_storecnt 0x0
	global_atomic_cmpswap_b64 v[2:3], v7, v[2:5], s[6:7] offset:32 th:TH_ATOMIC_RETURN scope:SCOPE_SYS
	s_wait_loadcnt 0x0
	v_cmp_eq_u64_e32 vcc_lo, v[2:3], v[4:5]
	v_dual_mov_b32 v5, v3 :: v_dual_mov_b32 v4, v2
	s_wait_alu 0xfffe
	s_or_b32 s18, vcc_lo, s18
	s_wait_alu 0xfffe
	s_and_not1_b32 exec_lo, exec_lo, s18
	s_cbranch_execnz .LBB3_95
.LBB3_96:                               ;   in Loop: Header=BB3_35 Depth=1
	s_wait_alu 0xfffe
	s_or_b32 exec_lo, exec_lo, s17
	global_load_b64 v[2:3], v7, s[6:7] offset:16
	s_mov_b32 s18, exec_lo
	s_mov_b32 s17, exec_lo
	s_wait_alu 0xfffe
	v_mbcnt_lo_u32_b32 v4, s18, 0
	s_delay_alu instid0(VALU_DEP_1)
	v_cmpx_eq_u32_e32 0, v4
	s_cbranch_execz .LBB3_98
; %bb.97:                               ;   in Loop: Header=BB3_35 Depth=1
	s_bcnt1_i32_b32 s18, s18
	s_wait_alu 0xfffe
	v_mov_b32_e32 v6, s18
	global_wb scope:SCOPE_SYS
	s_wait_loadcnt 0x0
	s_wait_storecnt 0x0
	global_atomic_add_u64 v[2:3], v[6:7], off offset:8 scope:SCOPE_SYS
.LBB3_98:                               ;   in Loop: Header=BB3_35 Depth=1
	s_wait_alu 0xfffe
	s_or_b32 exec_lo, exec_lo, s17
	s_wait_loadcnt 0x0
	global_load_b64 v[4:5], v[2:3], off offset:16
	s_wait_loadcnt 0x0
	v_cmp_eq_u64_e32 vcc_lo, 0, v[4:5]
	s_cbranch_vccnz .LBB3_100
; %bb.99:                               ;   in Loop: Header=BB3_35 Depth=1
	global_load_b32 v6, v[2:3], off offset:24
	s_wait_loadcnt 0x0
	v_readfirstlane_b32 s17, v6
	global_wb scope:SCOPE_SYS
	s_wait_storecnt 0x0
	global_store_b64 v[4:5], v[6:7], off scope:SCOPE_SYS
	s_and_b32 m0, s17, 0xffffff
	s_sendmsg sendmsg(MSG_INTERRUPT)
.LBB3_100:                              ;   in Loop: Header=BB3_35 Depth=1
	s_wait_alu 0xfffe
	s_or_b32 exec_lo, exec_lo, s16
	v_add_co_u32 v2, vcc_lo, v24, v32
	s_wait_alu 0xfffd
	v_add_co_ci_u32_e64 v3, null, 0, v25, vcc_lo
	s_branch .LBB3_104
.LBB3_101:                              ;   in Loop: Header=BB3_104 Depth=2
	s_wait_alu 0xfffe
	s_or_b32 exec_lo, exec_lo, s16
	s_delay_alu instid0(VALU_DEP_1)
	v_readfirstlane_b32 s16, v4
	s_cmp_eq_u32 s16, 0
	s_cbranch_scc1 .LBB3_103
; %bb.102:                              ;   in Loop: Header=BB3_104 Depth=2
	s_sleep 1
	s_cbranch_execnz .LBB3_104
	s_branch .LBB3_106
.LBB3_103:                              ;   in Loop: Header=BB3_35 Depth=1
	s_branch .LBB3_106
.LBB3_104:                              ;   Parent Loop BB3_35 Depth=1
                                        ; =>  This Inner Loop Header: Depth=2
	v_mov_b32_e32 v4, 1
	s_and_saveexec_b32 s16, s3
	s_cbranch_execz .LBB3_101
; %bb.105:                              ;   in Loop: Header=BB3_104 Depth=2
	global_load_b32 v4, v[27:28], off offset:20 scope:SCOPE_SYS
	s_wait_loadcnt 0x0
	global_inv scope:SCOPE_SYS
	v_and_b32_e32 v4, 1, v4
	s_branch .LBB3_101
.LBB3_106:                              ;   in Loop: Header=BB3_35 Depth=1
	global_load_b64 v[2:3], v[2:3], off
	s_and_saveexec_b32 s16, s3
	s_cbranch_execz .LBB3_34
; %bb.107:                              ;   in Loop: Header=BB3_35 Depth=1
	s_clause 0x2
	global_load_b64 v[4:5], v7, s[6:7] offset:40
	global_load_b64 v[14:15], v7, s[6:7] offset:24 scope:SCOPE_SYS
	global_load_b64 v[10:11], v7, s[6:7]
	s_wait_loadcnt 0x2
	v_readfirstlane_b32 s18, v4
	v_readfirstlane_b32 s19, v5
	s_add_nc_u64 s[24:25], s[18:19], 1
	s_delay_alu instid0(SALU_CYCLE_1)
	s_add_nc_u64 s[14:15], s[24:25], s[14:15]
	s_wait_alu 0xfffe
	s_cmp_eq_u64 s[14:15], 0
	s_cselect_b32 s15, s25, s15
	s_cselect_b32 s14, s24, s14
	s_wait_alu 0xfffe
	v_dual_mov_b32 v13, s15 :: v_dual_mov_b32 v12, s14
	s_and_b64 s[18:19], s[14:15], s[18:19]
	s_wait_alu 0xfffe
	s_mul_u64 s[18:19], s[18:19], 24
	s_wait_loadcnt 0x0
	s_wait_alu 0xfffe
	v_add_co_u32 v4, vcc_lo, v10, s18
	s_wait_alu 0xfffd
	v_add_co_ci_u32_e64 v5, null, s19, v11, vcc_lo
	global_store_b64 v[4:5], v[14:15], off
	global_wb scope:SCOPE_SYS
	s_wait_storecnt 0x0
	global_atomic_cmpswap_b64 v[12:13], v7, v[12:15], s[6:7] offset:24 th:TH_ATOMIC_RETURN scope:SCOPE_SYS
	s_wait_loadcnt 0x0
	v_cmp_ne_u64_e32 vcc_lo, v[12:13], v[14:15]
	s_and_b32 exec_lo, exec_lo, vcc_lo
	s_cbranch_execz .LBB3_34
; %bb.108:                              ;   in Loop: Header=BB3_35 Depth=1
	s_mov_b32 s3, 0
.LBB3_109:                              ;   Parent Loop BB3_35 Depth=1
                                        ; =>  This Inner Loop Header: Depth=2
	v_dual_mov_b32 v10, s14 :: v_dual_mov_b32 v11, s15
	s_sleep 1
	global_store_b64 v[4:5], v[12:13], off
	global_wb scope:SCOPE_SYS
	s_wait_storecnt 0x0
	global_atomic_cmpswap_b64 v[10:11], v7, v[10:13], s[6:7] offset:24 th:TH_ATOMIC_RETURN scope:SCOPE_SYS
	s_wait_loadcnt 0x0
	v_cmp_eq_u64_e32 vcc_lo, v[10:11], v[12:13]
	v_dual_mov_b32 v13, v11 :: v_dual_mov_b32 v12, v10
	s_wait_alu 0xfffe
	s_or_b32 s3, vcc_lo, s3
	s_wait_alu 0xfffe
	s_and_not1_b32 exec_lo, exec_lo, s3
	s_cbranch_execnz .LBB3_109
	s_branch .LBB3_34
.LBB3_110:
	s_branch .LBB3_138
.LBB3_111:
                                        ; implicit-def: $vgpr2_vgpr3
	s_cbranch_execz .LBB3_138
; %bb.112:
	v_readfirstlane_b32 s3, v33
	v_mov_b32_e32 v8, 0
	v_mov_b32_e32 v9, 0
	s_wait_alu 0xf1ff
	s_delay_alu instid0(VALU_DEP_3)
	v_cmp_eq_u32_e64 s3, s3, v33
	s_and_saveexec_b32 s8, s3
	s_cbranch_execz .LBB3_118
; %bb.113:
	s_wait_loadcnt 0x0
	v_mov_b32_e32 v2, 0
	s_mov_b32 s9, exec_lo
	global_load_b64 v[5:6], v2, s[6:7] offset:24 scope:SCOPE_SYS
	s_wait_loadcnt 0x0
	global_inv scope:SCOPE_SYS
	s_clause 0x1
	global_load_b64 v[3:4], v2, s[6:7] offset:40
	global_load_b64 v[7:8], v2, s[6:7]
	s_wait_loadcnt 0x1
	v_and_b32_e32 v4, v4, v6
	v_and_b32_e32 v3, v3, v5
	s_delay_alu instid0(VALU_DEP_2) | instskip(NEXT) | instid1(VALU_DEP_2)
	v_mul_lo_u32 v4, 24, v4
	v_mul_lo_u32 v9, 0, v3
	v_mul_hi_u32 v10, 24, v3
	v_mul_lo_u32 v3, 24, v3
	s_delay_alu instid0(VALU_DEP_3) | instskip(SKIP_1) | instid1(VALU_DEP_2)
	v_add_nc_u32_e32 v4, v4, v9
	s_wait_loadcnt 0x0
	v_add_co_u32 v3, vcc_lo, v7, v3
	s_delay_alu instid0(VALU_DEP_2) | instskip(SKIP_1) | instid1(VALU_DEP_1)
	v_add_nc_u32_e32 v4, v4, v10
	s_wait_alu 0xfffd
	v_add_co_ci_u32_e64 v4, null, v8, v4, vcc_lo
	global_load_b64 v[3:4], v[3:4], off scope:SCOPE_SYS
	s_wait_loadcnt 0x0
	global_atomic_cmpswap_b64 v[8:9], v2, v[3:6], s[6:7] offset:24 th:TH_ATOMIC_RETURN scope:SCOPE_SYS
	s_wait_loadcnt 0x0
	global_inv scope:SCOPE_SYS
	v_cmpx_ne_u64_e64 v[8:9], v[5:6]
	s_cbranch_execz .LBB3_117
; %bb.114:
	s_mov_b32 s10, 0
.LBB3_115:                              ; =>This Inner Loop Header: Depth=1
	s_sleep 1
	s_clause 0x1
	global_load_b64 v[3:4], v2, s[6:7] offset:40
	global_load_b64 v[10:11], v2, s[6:7]
	v_dual_mov_b32 v5, v8 :: v_dual_mov_b32 v6, v9
	s_wait_loadcnt 0x1
	s_delay_alu instid0(VALU_DEP_1) | instskip(NEXT) | instid1(VALU_DEP_2)
	v_and_b32_e32 v3, v3, v5
	v_and_b32_e32 v4, v4, v6
	s_wait_loadcnt 0x0
	s_delay_alu instid0(VALU_DEP_2) | instskip(NEXT) | instid1(VALU_DEP_1)
	v_mad_co_u64_u32 v[7:8], null, v3, 24, v[10:11]
	v_mov_b32_e32 v3, v8
	s_delay_alu instid0(VALU_DEP_1) | instskip(NEXT) | instid1(VALU_DEP_1)
	v_mad_co_u64_u32 v[3:4], null, v4, 24, v[3:4]
	v_mov_b32_e32 v8, v3
	global_load_b64 v[3:4], v[7:8], off scope:SCOPE_SYS
	s_wait_loadcnt 0x0
	global_atomic_cmpswap_b64 v[8:9], v2, v[3:6], s[6:7] offset:24 th:TH_ATOMIC_RETURN scope:SCOPE_SYS
	s_wait_loadcnt 0x0
	global_inv scope:SCOPE_SYS
	v_cmp_eq_u64_e32 vcc_lo, v[8:9], v[5:6]
	s_wait_alu 0xfffe
	s_or_b32 s10, vcc_lo, s10
	s_wait_alu 0xfffe
	s_and_not1_b32 exec_lo, exec_lo, s10
	s_cbranch_execnz .LBB3_115
; %bb.116:
	s_or_b32 exec_lo, exec_lo, s10
.LBB3_117:
	s_wait_alu 0xfffe
	s_or_b32 exec_lo, exec_lo, s9
.LBB3_118:
	s_wait_alu 0xfffe
	s_or_b32 exec_lo, exec_lo, s8
	v_readfirstlane_b32 s9, v9
	s_wait_loadcnt 0x0
	v_mov_b32_e32 v2, 0
	v_readfirstlane_b32 s8, v8
	s_mov_b32 s10, exec_lo
	s_clause 0x1
	global_load_b64 v[10:11], v2, s[6:7] offset:40
	global_load_b128 v[4:7], v2, s[6:7]
	s_wait_loadcnt 0x1
	s_wait_alu 0xf1ff
	v_and_b32_e32 v11, s9, v11
	v_and_b32_e32 v10, s8, v10
	s_delay_alu instid0(VALU_DEP_2) | instskip(NEXT) | instid1(VALU_DEP_2)
	v_mul_lo_u32 v3, 24, v11
	v_mul_lo_u32 v8, 0, v10
	v_mul_hi_u32 v9, 24, v10
	v_mul_lo_u32 v12, 24, v10
	s_delay_alu instid0(VALU_DEP_3) | instskip(SKIP_1) | instid1(VALU_DEP_2)
	v_add_nc_u32_e32 v3, v3, v8
	s_wait_loadcnt 0x0
	v_add_co_u32 v8, vcc_lo, v4, v12
	s_delay_alu instid0(VALU_DEP_2) | instskip(SKIP_1) | instid1(VALU_DEP_1)
	v_add_nc_u32_e32 v3, v3, v9
	s_wait_alu 0xfffd
	v_add_co_ci_u32_e64 v9, null, v5, v3, vcc_lo
	s_and_saveexec_b32 s11, s3
	s_cbranch_execz .LBB3_120
; %bb.119:
	s_wait_alu 0xfffe
	v_dual_mov_b32 v12, s10 :: v_dual_mov_b32 v13, v2
	v_dual_mov_b32 v14, 2 :: v_dual_mov_b32 v15, 1
	global_store_b128 v[8:9], v[12:15], off offset:8
.LBB3_120:
	s_wait_alu 0xfffe
	s_or_b32 exec_lo, exec_lo, s11
	v_lshlrev_b64_e32 v[10:11], 12, v[10:11]
	s_mov_b32 s12, 0
	v_and_or_b32 v0, 0xffffff1f, v0, 32
	s_wait_alu 0xfffe
	s_mov_b32 s13, s12
	s_mov_b32 s14, s12
	;; [unrolled: 1-line block ×3, first 2 shown]
	v_add_co_u32 v6, vcc_lo, v6, v10
	s_wait_alu 0xfffd
	v_add_co_ci_u32_e64 v7, null, v7, v11, vcc_lo
	v_dual_mov_b32 v3, v2 :: v_dual_mov_b32 v10, s12
	s_delay_alu instid0(VALU_DEP_3) | instskip(SKIP_1) | instid1(VALU_DEP_4)
	v_readfirstlane_b32 s10, v6
	v_add_co_u32 v6, vcc_lo, v6, v32
	v_readfirstlane_b32 s11, v7
	s_wait_alu 0xfffd
	v_add_co_ci_u32_e64 v7, null, 0, v7, vcc_lo
	s_wait_alu 0xfffe
	v_dual_mov_b32 v11, s13 :: v_dual_mov_b32 v12, s14
	v_mov_b32_e32 v13, s15
	s_clause 0x3
	global_store_b128 v32, v[0:3], s[10:11]
	global_store_b128 v32, v[10:13], s[10:11] offset:16
	global_store_b128 v32, v[10:13], s[10:11] offset:32
	global_store_b128 v32, v[10:13], s[10:11] offset:48
	s_and_saveexec_b32 s10, s3
	s_cbranch_execz .LBB3_127
; %bb.121:
	v_mov_b32_e32 v10, 0
	s_mov_b32 s11, exec_lo
	s_clause 0x1
	global_load_b64 v[13:14], v10, s[6:7] offset:32 scope:SCOPE_SYS
	global_load_b64 v[0:1], v10, s[6:7] offset:40
	v_dual_mov_b32 v11, s8 :: v_dual_mov_b32 v12, s9
	s_wait_loadcnt 0x0
	v_and_b32_e32 v1, s9, v1
	v_and_b32_e32 v0, s8, v0
	s_delay_alu instid0(VALU_DEP_2) | instskip(NEXT) | instid1(VALU_DEP_2)
	v_mul_lo_u32 v1, 24, v1
	v_mul_lo_u32 v2, 0, v0
	v_mul_hi_u32 v3, 24, v0
	v_mul_lo_u32 v0, 24, v0
	s_delay_alu instid0(VALU_DEP_3) | instskip(NEXT) | instid1(VALU_DEP_2)
	v_add_nc_u32_e32 v1, v1, v2
	v_add_co_u32 v4, vcc_lo, v4, v0
	s_delay_alu instid0(VALU_DEP_2) | instskip(SKIP_1) | instid1(VALU_DEP_1)
	v_add_nc_u32_e32 v1, v1, v3
	s_wait_alu 0xfffd
	v_add_co_ci_u32_e64 v5, null, v5, v1, vcc_lo
	global_store_b64 v[4:5], v[13:14], off
	global_wb scope:SCOPE_SYS
	s_wait_storecnt 0x0
	global_atomic_cmpswap_b64 v[2:3], v10, v[11:14], s[6:7] offset:32 th:TH_ATOMIC_RETURN scope:SCOPE_SYS
	s_wait_loadcnt 0x0
	v_cmpx_ne_u64_e64 v[2:3], v[13:14]
	s_cbranch_execz .LBB3_123
.LBB3_122:                              ; =>This Inner Loop Header: Depth=1
	v_dual_mov_b32 v0, s8 :: v_dual_mov_b32 v1, s9
	s_sleep 1
	global_store_b64 v[4:5], v[2:3], off
	global_wb scope:SCOPE_SYS
	s_wait_storecnt 0x0
	global_atomic_cmpswap_b64 v[0:1], v10, v[0:3], s[6:7] offset:32 th:TH_ATOMIC_RETURN scope:SCOPE_SYS
	s_wait_loadcnt 0x0
	v_cmp_eq_u64_e32 vcc_lo, v[0:1], v[2:3]
	v_dual_mov_b32 v3, v1 :: v_dual_mov_b32 v2, v0
	s_or_b32 s12, vcc_lo, s12
	s_wait_alu 0xfffe
	s_and_not1_b32 exec_lo, exec_lo, s12
	s_cbranch_execnz .LBB3_122
.LBB3_123:
	s_wait_alu 0xfffe
	s_or_b32 exec_lo, exec_lo, s11
	v_mov_b32_e32 v3, 0
	s_mov_b32 s12, exec_lo
	s_mov_b32 s11, exec_lo
	s_wait_alu 0xfffe
	v_mbcnt_lo_u32_b32 v2, s12, 0
	global_load_b64 v[0:1], v3, s[6:7] offset:16
	v_cmpx_eq_u32_e32 0, v2
	s_cbranch_execz .LBB3_125
; %bb.124:
	s_bcnt1_i32_b32 s12, s12
	s_wait_alu 0xfffe
	v_mov_b32_e32 v2, s12
	global_wb scope:SCOPE_SYS
	s_wait_loadcnt 0x0
	s_wait_storecnt 0x0
	global_atomic_add_u64 v[0:1], v[2:3], off offset:8 scope:SCOPE_SYS
.LBB3_125:
	s_or_b32 exec_lo, exec_lo, s11
	s_wait_loadcnt 0x0
	global_load_b64 v[2:3], v[0:1], off offset:16
	s_wait_loadcnt 0x0
	v_cmp_eq_u64_e32 vcc_lo, 0, v[2:3]
	s_cbranch_vccnz .LBB3_127
; %bb.126:
	global_load_b32 v0, v[0:1], off offset:24
	v_mov_b32_e32 v1, 0
	s_wait_loadcnt 0x0
	v_readfirstlane_b32 s11, v0
	global_wb scope:SCOPE_SYS
	s_wait_storecnt 0x0
	global_store_b64 v[2:3], v[0:1], off scope:SCOPE_SYS
	s_and_b32 m0, s11, 0xffffff
	s_sendmsg sendmsg(MSG_INTERRUPT)
.LBB3_127:
	s_wait_alu 0xfffe
	s_or_b32 exec_lo, exec_lo, s10
	s_branch .LBB3_131
.LBB3_128:                              ;   in Loop: Header=BB3_131 Depth=1
	s_wait_alu 0xfffe
	s_or_b32 exec_lo, exec_lo, s10
	s_delay_alu instid0(VALU_DEP_1)
	v_readfirstlane_b32 s10, v0
	s_cmp_eq_u32 s10, 0
	s_cbranch_scc1 .LBB3_130
; %bb.129:                              ;   in Loop: Header=BB3_131 Depth=1
	s_sleep 1
	s_cbranch_execnz .LBB3_131
	s_branch .LBB3_133
.LBB3_130:
	s_branch .LBB3_133
.LBB3_131:                              ; =>This Inner Loop Header: Depth=1
	v_mov_b32_e32 v0, 1
	s_and_saveexec_b32 s10, s3
	s_cbranch_execz .LBB3_128
; %bb.132:                              ;   in Loop: Header=BB3_131 Depth=1
	global_load_b32 v0, v[8:9], off offset:20 scope:SCOPE_SYS
	s_wait_loadcnt 0x0
	global_inv scope:SCOPE_SYS
	v_and_b32_e32 v0, 1, v0
	s_branch .LBB3_128
.LBB3_133:
	global_load_b64 v[2:3], v[6:7], off
	s_and_saveexec_b32 s10, s3
	s_cbranch_execz .LBB3_137
; %bb.134:
	v_mov_b32_e32 v8, 0
	s_clause 0x2
	global_load_b64 v[0:1], v8, s[6:7] offset:40
	global_load_b64 v[11:12], v8, s[6:7] offset:24 scope:SCOPE_SYS
	global_load_b64 v[4:5], v8, s[6:7]
	s_wait_loadcnt 0x2
	v_readfirstlane_b32 s12, v0
	v_readfirstlane_b32 s13, v1
	s_add_nc_u64 s[14:15], s[12:13], 1
	s_wait_alu 0xfffe
	s_add_nc_u64 s[8:9], s[14:15], s[8:9]
	s_wait_alu 0xfffe
	s_cmp_eq_u64 s[8:9], 0
	s_cselect_b32 s9, s15, s9
	s_cselect_b32 s8, s14, s8
	s_wait_alu 0xfffe
	v_mov_b32_e32 v10, s9
	s_and_b64 s[12:13], s[8:9], s[12:13]
	v_mov_b32_e32 v9, s8
	s_wait_alu 0xfffe
	s_mul_u64 s[12:13], s[12:13], 24
	s_wait_loadcnt 0x0
	s_wait_alu 0xfffe
	v_add_co_u32 v0, vcc_lo, v4, s12
	s_wait_alu 0xfffd
	v_add_co_ci_u32_e64 v1, null, s13, v5, vcc_lo
	global_store_b64 v[0:1], v[11:12], off
	global_wb scope:SCOPE_SYS
	s_wait_storecnt 0x0
	global_atomic_cmpswap_b64 v[6:7], v8, v[9:12], s[6:7] offset:24 th:TH_ATOMIC_RETURN scope:SCOPE_SYS
	s_wait_loadcnt 0x0
	v_cmp_ne_u64_e32 vcc_lo, v[6:7], v[11:12]
	s_and_b32 exec_lo, exec_lo, vcc_lo
	s_cbranch_execz .LBB3_137
; %bb.135:
	s_mov_b32 s3, 0
.LBB3_136:                              ; =>This Inner Loop Header: Depth=1
	v_dual_mov_b32 v4, s8 :: v_dual_mov_b32 v5, s9
	s_sleep 1
	global_store_b64 v[0:1], v[6:7], off
	global_wb scope:SCOPE_SYS
	s_wait_storecnt 0x0
	global_atomic_cmpswap_b64 v[4:5], v8, v[4:7], s[6:7] offset:24 th:TH_ATOMIC_RETURN scope:SCOPE_SYS
	s_wait_loadcnt 0x0
	v_cmp_eq_u64_e32 vcc_lo, v[4:5], v[6:7]
	v_dual_mov_b32 v7, v5 :: v_dual_mov_b32 v6, v4
	s_wait_alu 0xfffe
	s_or_b32 s3, vcc_lo, s3
	s_wait_alu 0xfffe
	s_and_not1_b32 exec_lo, exec_lo, s3
	s_cbranch_execnz .LBB3_136
.LBB3_137:
	s_wait_alu 0xfffe
	s_or_b32 exec_lo, exec_lo, s10
.LBB3_138:
	v_readfirstlane_b32 s3, v33
	s_wait_loadcnt 0x0
	v_mov_b32_e32 v0, 0
	v_mov_b32_e32 v1, 0
	s_wait_alu 0xf1ff
	v_cmp_eq_u32_e64 s3, s3, v33
	s_and_saveexec_b32 s8, s3
	s_cbranch_execz .LBB3_144
; %bb.139:
	v_mov_b32_e32 v4, 0
	s_mov_b32 s9, exec_lo
	global_load_b64 v[7:8], v4, s[6:7] offset:24 scope:SCOPE_SYS
	s_wait_loadcnt 0x0
	global_inv scope:SCOPE_SYS
	s_clause 0x1
	global_load_b64 v[0:1], v4, s[6:7] offset:40
	global_load_b64 v[5:6], v4, s[6:7]
	s_wait_loadcnt 0x1
	v_and_b32_e32 v1, v1, v8
	v_and_b32_e32 v0, v0, v7
	s_delay_alu instid0(VALU_DEP_2) | instskip(NEXT) | instid1(VALU_DEP_2)
	v_mul_lo_u32 v1, 24, v1
	v_mul_lo_u32 v9, 0, v0
	v_mul_hi_u32 v10, 24, v0
	v_mul_lo_u32 v0, 24, v0
	s_delay_alu instid0(VALU_DEP_3) | instskip(SKIP_1) | instid1(VALU_DEP_2)
	v_add_nc_u32_e32 v1, v1, v9
	s_wait_loadcnt 0x0
	v_add_co_u32 v0, vcc_lo, v5, v0
	s_delay_alu instid0(VALU_DEP_2) | instskip(SKIP_1) | instid1(VALU_DEP_1)
	v_add_nc_u32_e32 v1, v1, v10
	s_wait_alu 0xfffd
	v_add_co_ci_u32_e64 v1, null, v6, v1, vcc_lo
	global_load_b64 v[5:6], v[0:1], off scope:SCOPE_SYS
	s_wait_loadcnt 0x0
	global_atomic_cmpswap_b64 v[0:1], v4, v[5:8], s[6:7] offset:24 th:TH_ATOMIC_RETURN scope:SCOPE_SYS
	s_wait_loadcnt 0x0
	global_inv scope:SCOPE_SYS
	v_cmpx_ne_u64_e64 v[0:1], v[7:8]
	s_cbranch_execz .LBB3_143
; %bb.140:
	s_mov_b32 s10, 0
.LBB3_141:                              ; =>This Inner Loop Header: Depth=1
	s_sleep 1
	s_clause 0x1
	global_load_b64 v[5:6], v4, s[6:7] offset:40
	global_load_b64 v[9:10], v4, s[6:7]
	v_dual_mov_b32 v8, v1 :: v_dual_mov_b32 v7, v0
	s_wait_loadcnt 0x1
	s_delay_alu instid0(VALU_DEP_1) | instskip(NEXT) | instid1(VALU_DEP_2)
	v_and_b32_e32 v0, v5, v7
	v_and_b32_e32 v5, v6, v8
	s_wait_loadcnt 0x0
	s_delay_alu instid0(VALU_DEP_2) | instskip(NEXT) | instid1(VALU_DEP_1)
	v_mad_co_u64_u32 v[0:1], null, v0, 24, v[9:10]
	v_mad_co_u64_u32 v[5:6], null, v5, 24, v[1:2]
	s_delay_alu instid0(VALU_DEP_1)
	v_mov_b32_e32 v1, v5
	global_load_b64 v[5:6], v[0:1], off scope:SCOPE_SYS
	s_wait_loadcnt 0x0
	global_atomic_cmpswap_b64 v[0:1], v4, v[5:8], s[6:7] offset:24 th:TH_ATOMIC_RETURN scope:SCOPE_SYS
	s_wait_loadcnt 0x0
	global_inv scope:SCOPE_SYS
	v_cmp_eq_u64_e32 vcc_lo, v[0:1], v[7:8]
	s_wait_alu 0xfffe
	s_or_b32 s10, vcc_lo, s10
	s_wait_alu 0xfffe
	s_and_not1_b32 exec_lo, exec_lo, s10
	s_cbranch_execnz .LBB3_141
; %bb.142:
	s_or_b32 exec_lo, exec_lo, s10
.LBB3_143:
	s_wait_alu 0xfffe
	s_or_b32 exec_lo, exec_lo, s9
.LBB3_144:
	s_wait_alu 0xfffe
	s_or_b32 exec_lo, exec_lo, s8
	v_readfirstlane_b32 s8, v0
	v_mov_b32_e32 v5, 0
	v_readfirstlane_b32 s9, v1
	s_mov_b32 s10, exec_lo
	s_clause 0x1
	global_load_b64 v[10:11], v5, s[6:7] offset:40
	global_load_b128 v[6:9], v5, s[6:7]
	s_wait_loadcnt 0x1
	s_wait_alu 0xf1ff
	v_and_b32_e32 v1, s9, v11
	v_and_b32_e32 v0, s8, v10
	s_delay_alu instid0(VALU_DEP_2) | instskip(NEXT) | instid1(VALU_DEP_2)
	v_mul_lo_u32 v4, 24, v1
	v_mul_lo_u32 v10, 0, v0
	v_mul_hi_u32 v11, 24, v0
	v_mul_lo_u32 v12, 24, v0
	s_delay_alu instid0(VALU_DEP_3) | instskip(SKIP_1) | instid1(VALU_DEP_2)
	v_add_nc_u32_e32 v4, v4, v10
	s_wait_loadcnt 0x0
	v_add_co_u32 v10, vcc_lo, v6, v12
	s_delay_alu instid0(VALU_DEP_2) | instskip(SKIP_1) | instid1(VALU_DEP_1)
	v_add_nc_u32_e32 v4, v4, v11
	s_wait_alu 0xfffd
	v_add_co_ci_u32_e64 v11, null, v7, v4, vcc_lo
	s_and_saveexec_b32 s11, s3
	s_cbranch_execz .LBB3_146
; %bb.145:
	s_wait_alu 0xfffe
	v_dual_mov_b32 v4, s10 :: v_dual_mov_b32 v15, 1
	v_dual_mov_b32 v14, 2 :: v_dual_mov_b32 v13, v5
	s_delay_alu instid0(VALU_DEP_2)
	v_mov_b32_e32 v12, v4
	global_store_b128 v[10:11], v[12:15], off offset:8
.LBB3_146:
	s_wait_alu 0xfffe
	s_or_b32 exec_lo, exec_lo, s11
	v_lshlrev_b64_e32 v[0:1], 12, v[0:1]
	s_mov_b32 s12, 0
	s_add_co_i32 s10, s20, -1
	s_wait_alu 0xfffe
	s_mov_b32 s13, s12
	s_mov_b32 s14, s12
	s_mov_b32 s15, s12
	v_add_co_u32 v0, vcc_lo, v8, v0
	s_wait_alu 0xfffd
	v_add_co_ci_u32_e64 v1, null, v9, v1, vcc_lo
	v_and_or_b32 v2, 0xffffff1f, v2, 32
	s_delay_alu instid0(VALU_DEP_3)
	v_add_co_u32 v8, vcc_lo, v0, v32
	v_mov_b32_e32 v4, s10
	v_readfirstlane_b32 s16, v0
	v_readfirstlane_b32 s17, v1
	s_wait_alu 0xfffe
	v_dual_mov_b32 v12, s12 :: v_dual_mov_b32 v15, s15
	s_wait_alu 0xfffd
	v_add_co_ci_u32_e64 v9, null, 0, v1, vcc_lo
	v_dual_mov_b32 v13, s13 :: v_dual_mov_b32 v14, s14
	s_clause 0x3
	global_store_b128 v32, v[2:5], s[16:17]
	global_store_b128 v32, v[12:15], s[16:17] offset:16
	global_store_b128 v32, v[12:15], s[16:17] offset:32
	;; [unrolled: 1-line block ×3, first 2 shown]
	s_and_saveexec_b32 s11, s3
	s_cbranch_execz .LBB3_154
; %bb.147:
	v_mov_b32_e32 v12, 0
	s_mov_b32 s12, exec_lo
	s_clause 0x1
	global_load_b64 v[15:16], v12, s[6:7] offset:32 scope:SCOPE_SYS
	global_load_b64 v[0:1], v12, s[6:7] offset:40
	v_dual_mov_b32 v13, s8 :: v_dual_mov_b32 v14, s9
	s_wait_loadcnt 0x0
	v_and_b32_e32 v1, s9, v1
	v_and_b32_e32 v0, s8, v0
	s_delay_alu instid0(VALU_DEP_2) | instskip(NEXT) | instid1(VALU_DEP_2)
	v_mul_lo_u32 v1, 24, v1
	v_mul_lo_u32 v2, 0, v0
	v_mul_hi_u32 v3, 24, v0
	v_mul_lo_u32 v0, 24, v0
	s_delay_alu instid0(VALU_DEP_3) | instskip(NEXT) | instid1(VALU_DEP_2)
	v_add_nc_u32_e32 v1, v1, v2
	v_add_co_u32 v4, vcc_lo, v6, v0
	s_delay_alu instid0(VALU_DEP_2) | instskip(SKIP_1) | instid1(VALU_DEP_1)
	v_add_nc_u32_e32 v1, v1, v3
	s_wait_alu 0xfffd
	v_add_co_ci_u32_e64 v5, null, v7, v1, vcc_lo
	global_store_b64 v[4:5], v[15:16], off
	global_wb scope:SCOPE_SYS
	s_wait_storecnt 0x0
	global_atomic_cmpswap_b64 v[2:3], v12, v[13:16], s[6:7] offset:32 th:TH_ATOMIC_RETURN scope:SCOPE_SYS
	s_wait_loadcnt 0x0
	v_cmpx_ne_u64_e64 v[2:3], v[15:16]
	s_cbranch_execz .LBB3_150
; %bb.148:
	s_mov_b32 s13, 0
.LBB3_149:                              ; =>This Inner Loop Header: Depth=1
	v_dual_mov_b32 v0, s8 :: v_dual_mov_b32 v1, s9
	s_sleep 1
	global_store_b64 v[4:5], v[2:3], off
	global_wb scope:SCOPE_SYS
	s_wait_storecnt 0x0
	global_atomic_cmpswap_b64 v[0:1], v12, v[0:3], s[6:7] offset:32 th:TH_ATOMIC_RETURN scope:SCOPE_SYS
	s_wait_loadcnt 0x0
	v_cmp_eq_u64_e32 vcc_lo, v[0:1], v[2:3]
	v_dual_mov_b32 v3, v1 :: v_dual_mov_b32 v2, v0
	s_wait_alu 0xfffe
	s_or_b32 s13, vcc_lo, s13
	s_wait_alu 0xfffe
	s_and_not1_b32 exec_lo, exec_lo, s13
	s_cbranch_execnz .LBB3_149
.LBB3_150:
	s_wait_alu 0xfffe
	s_or_b32 exec_lo, exec_lo, s12
	v_mov_b32_e32 v3, 0
	s_mov_b32 s13, exec_lo
	s_mov_b32 s12, exec_lo
	s_wait_alu 0xfffe
	v_mbcnt_lo_u32_b32 v2, s13, 0
	global_load_b64 v[0:1], v3, s[6:7] offset:16
	v_cmpx_eq_u32_e32 0, v2
	s_cbranch_execz .LBB3_152
; %bb.151:
	s_bcnt1_i32_b32 s13, s13
	s_wait_alu 0xfffe
	v_mov_b32_e32 v2, s13
	global_wb scope:SCOPE_SYS
	s_wait_loadcnt 0x0
	s_wait_storecnt 0x0
	global_atomic_add_u64 v[0:1], v[2:3], off offset:8 scope:SCOPE_SYS
.LBB3_152:
	s_or_b32 exec_lo, exec_lo, s12
	s_wait_loadcnt 0x0
	global_load_b64 v[2:3], v[0:1], off offset:16
	s_wait_loadcnt 0x0
	v_cmp_eq_u64_e32 vcc_lo, 0, v[2:3]
	s_cbranch_vccnz .LBB3_154
; %bb.153:
	global_load_b32 v0, v[0:1], off offset:24
	v_mov_b32_e32 v1, 0
	s_wait_loadcnt 0x0
	v_readfirstlane_b32 s12, v0
	global_wb scope:SCOPE_SYS
	s_wait_storecnt 0x0
	global_store_b64 v[2:3], v[0:1], off scope:SCOPE_SYS
	s_and_b32 m0, s12, 0xffffff
	s_sendmsg sendmsg(MSG_INTERRUPT)
.LBB3_154:
	s_wait_alu 0xfffe
	s_or_b32 exec_lo, exec_lo, s11
	s_branch .LBB3_158
.LBB3_155:                              ;   in Loop: Header=BB3_158 Depth=1
	s_wait_alu 0xfffe
	s_or_b32 exec_lo, exec_lo, s11
	s_delay_alu instid0(VALU_DEP_1)
	v_readfirstlane_b32 s11, v0
	s_cmp_eq_u32 s11, 0
	s_cbranch_scc1 .LBB3_157
; %bb.156:                              ;   in Loop: Header=BB3_158 Depth=1
	s_sleep 1
	s_cbranch_execnz .LBB3_158
	s_branch .LBB3_160
.LBB3_157:
	s_branch .LBB3_160
.LBB3_158:                              ; =>This Inner Loop Header: Depth=1
	v_mov_b32_e32 v0, 1
	s_and_saveexec_b32 s11, s3
	s_cbranch_execz .LBB3_155
; %bb.159:                              ;   in Loop: Header=BB3_158 Depth=1
	global_load_b32 v0, v[10:11], off offset:20 scope:SCOPE_SYS
	s_wait_loadcnt 0x0
	global_inv scope:SCOPE_SYS
	v_and_b32_e32 v0, 1, v0
	s_branch .LBB3_155
.LBB3_160:
	global_load_b64 v[0:1], v[8:9], off
	s_and_saveexec_b32 s11, s3
	s_cbranch_execz .LBB3_164
; %bb.161:
	v_mov_b32_e32 v8, 0
	s_clause 0x2
	global_load_b64 v[2:3], v8, s[6:7] offset:40
	global_load_b64 v[11:12], v8, s[6:7] offset:24 scope:SCOPE_SYS
	global_load_b64 v[4:5], v8, s[6:7]
	s_wait_loadcnt 0x2
	v_readfirstlane_b32 s12, v2
	v_readfirstlane_b32 s13, v3
	s_add_nc_u64 s[14:15], s[12:13], 1
	s_wait_alu 0xfffe
	s_add_nc_u64 s[8:9], s[14:15], s[8:9]
	s_wait_alu 0xfffe
	s_cmp_eq_u64 s[8:9], 0
	s_cselect_b32 s9, s15, s9
	s_cselect_b32 s8, s14, s8
	s_wait_alu 0xfffe
	v_mov_b32_e32 v10, s9
	s_and_b64 s[12:13], s[8:9], s[12:13]
	v_mov_b32_e32 v9, s8
	s_wait_alu 0xfffe
	s_mul_u64 s[12:13], s[12:13], 24
	s_wait_loadcnt 0x0
	s_wait_alu 0xfffe
	v_add_co_u32 v6, vcc_lo, v4, s12
	s_wait_alu 0xfffd
	v_add_co_ci_u32_e64 v7, null, s13, v5, vcc_lo
	global_store_b64 v[6:7], v[11:12], off
	global_wb scope:SCOPE_SYS
	s_wait_storecnt 0x0
	global_atomic_cmpswap_b64 v[4:5], v8, v[9:12], s[6:7] offset:24 th:TH_ATOMIC_RETURN scope:SCOPE_SYS
	s_wait_loadcnt 0x0
	v_cmp_ne_u64_e32 vcc_lo, v[4:5], v[11:12]
	s_and_b32 exec_lo, exec_lo, vcc_lo
	s_cbranch_execz .LBB3_164
; %bb.162:
	s_mov_b32 s3, 0
.LBB3_163:                              ; =>This Inner Loop Header: Depth=1
	v_dual_mov_b32 v2, s8 :: v_dual_mov_b32 v3, s9
	s_sleep 1
	global_store_b64 v[6:7], v[4:5], off
	global_wb scope:SCOPE_SYS
	s_wait_storecnt 0x0
	global_atomic_cmpswap_b64 v[2:3], v8, v[2:5], s[6:7] offset:24 th:TH_ATOMIC_RETURN scope:SCOPE_SYS
	s_wait_loadcnt 0x0
	v_cmp_eq_u64_e32 vcc_lo, v[2:3], v[4:5]
	v_dual_mov_b32 v5, v3 :: v_dual_mov_b32 v4, v2
	s_wait_alu 0xfffe
	s_or_b32 s3, vcc_lo, s3
	s_wait_alu 0xfffe
	s_and_not1_b32 exec_lo, exec_lo, s3
	s_cbranch_execnz .LBB3_163
.LBB3_164:
	s_wait_alu 0xfffe
	s_or_b32 exec_lo, exec_lo, s11
	v_readfirstlane_b32 s3, v33
	v_mov_b32_e32 v8, 0
	v_mov_b32_e32 v9, 0
	s_wait_alu 0xf1ff
	s_delay_alu instid0(VALU_DEP_3)
	v_cmp_eq_u32_e64 s3, s3, v33
	s_and_saveexec_b32 s8, s3
	s_cbranch_execz .LBB3_170
; %bb.165:
	v_mov_b32_e32 v2, 0
	s_mov_b32 s9, exec_lo
	global_load_b64 v[5:6], v2, s[6:7] offset:24 scope:SCOPE_SYS
	s_wait_loadcnt 0x0
	global_inv scope:SCOPE_SYS
	s_clause 0x1
	global_load_b64 v[3:4], v2, s[6:7] offset:40
	global_load_b64 v[7:8], v2, s[6:7]
	s_wait_loadcnt 0x1
	v_and_b32_e32 v4, v4, v6
	v_and_b32_e32 v3, v3, v5
	s_delay_alu instid0(VALU_DEP_2) | instskip(NEXT) | instid1(VALU_DEP_2)
	v_mul_lo_u32 v4, 24, v4
	v_mul_lo_u32 v9, 0, v3
	v_mul_hi_u32 v10, 24, v3
	v_mul_lo_u32 v3, 24, v3
	s_delay_alu instid0(VALU_DEP_3) | instskip(SKIP_1) | instid1(VALU_DEP_2)
	v_add_nc_u32_e32 v4, v4, v9
	s_wait_loadcnt 0x0
	v_add_co_u32 v3, vcc_lo, v7, v3
	s_delay_alu instid0(VALU_DEP_2) | instskip(SKIP_1) | instid1(VALU_DEP_1)
	v_add_nc_u32_e32 v4, v4, v10
	s_wait_alu 0xfffd
	v_add_co_ci_u32_e64 v4, null, v8, v4, vcc_lo
	global_load_b64 v[3:4], v[3:4], off scope:SCOPE_SYS
	s_wait_loadcnt 0x0
	global_atomic_cmpswap_b64 v[8:9], v2, v[3:6], s[6:7] offset:24 th:TH_ATOMIC_RETURN scope:SCOPE_SYS
	s_wait_loadcnt 0x0
	global_inv scope:SCOPE_SYS
	v_cmpx_ne_u64_e64 v[8:9], v[5:6]
	s_cbranch_execz .LBB3_169
; %bb.166:
	s_mov_b32 s11, 0
.LBB3_167:                              ; =>This Inner Loop Header: Depth=1
	s_sleep 1
	s_clause 0x1
	global_load_b64 v[3:4], v2, s[6:7] offset:40
	global_load_b64 v[10:11], v2, s[6:7]
	v_dual_mov_b32 v5, v8 :: v_dual_mov_b32 v6, v9
	s_wait_loadcnt 0x1
	s_delay_alu instid0(VALU_DEP_1) | instskip(NEXT) | instid1(VALU_DEP_2)
	v_and_b32_e32 v3, v3, v5
	v_and_b32_e32 v4, v4, v6
	s_wait_loadcnt 0x0
	s_delay_alu instid0(VALU_DEP_2) | instskip(NEXT) | instid1(VALU_DEP_1)
	v_mad_co_u64_u32 v[7:8], null, v3, 24, v[10:11]
	v_mov_b32_e32 v3, v8
	s_delay_alu instid0(VALU_DEP_1) | instskip(NEXT) | instid1(VALU_DEP_1)
	v_mad_co_u64_u32 v[3:4], null, v4, 24, v[3:4]
	v_mov_b32_e32 v8, v3
	global_load_b64 v[3:4], v[7:8], off scope:SCOPE_SYS
	s_wait_loadcnt 0x0
	global_atomic_cmpswap_b64 v[8:9], v2, v[3:6], s[6:7] offset:24 th:TH_ATOMIC_RETURN scope:SCOPE_SYS
	s_wait_loadcnt 0x0
	global_inv scope:SCOPE_SYS
	v_cmp_eq_u64_e32 vcc_lo, v[8:9], v[5:6]
	s_wait_alu 0xfffe
	s_or_b32 s11, vcc_lo, s11
	s_wait_alu 0xfffe
	s_and_not1_b32 exec_lo, exec_lo, s11
	s_cbranch_execnz .LBB3_167
; %bb.168:
	s_or_b32 exec_lo, exec_lo, s11
.LBB3_169:
	s_wait_alu 0xfffe
	s_or_b32 exec_lo, exec_lo, s9
.LBB3_170:
	s_wait_alu 0xfffe
	s_or_b32 exec_lo, exec_lo, s8
	v_readfirstlane_b32 s8, v8
	v_mov_b32_e32 v3, 0
	v_readfirstlane_b32 s9, v9
	s_mov_b32 s11, exec_lo
	s_clause 0x1
	global_load_b64 v[10:11], v3, s[6:7] offset:40
	global_load_b128 v[4:7], v3, s[6:7]
	s_wait_loadcnt 0x1
	s_wait_alu 0xf1ff
	v_and_b32_e32 v11, s9, v11
	v_and_b32_e32 v10, s8, v10
	s_delay_alu instid0(VALU_DEP_2) | instskip(NEXT) | instid1(VALU_DEP_2)
	v_mul_lo_u32 v2, 24, v11
	v_mul_lo_u32 v8, 0, v10
	v_mul_hi_u32 v9, 24, v10
	v_mul_lo_u32 v12, 24, v10
	s_delay_alu instid0(VALU_DEP_3) | instskip(SKIP_1) | instid1(VALU_DEP_2)
	v_add_nc_u32_e32 v2, v2, v8
	s_wait_loadcnt 0x0
	v_add_co_u32 v8, vcc_lo, v4, v12
	s_delay_alu instid0(VALU_DEP_2) | instskip(SKIP_1) | instid1(VALU_DEP_1)
	v_add_nc_u32_e32 v2, v2, v9
	s_wait_alu 0xfffd
	v_add_co_ci_u32_e64 v9, null, v5, v2, vcc_lo
	s_and_saveexec_b32 s12, s3
	s_cbranch_execz .LBB3_172
; %bb.171:
	s_wait_alu 0xfffe
	v_dual_mov_b32 v2, s11 :: v_dual_mov_b32 v15, 1
	v_dual_mov_b32 v14, 2 :: v_dual_mov_b32 v13, v3
	s_delay_alu instid0(VALU_DEP_2)
	v_mov_b32_e32 v12, v2
	global_store_b128 v[8:9], v[12:15], off offset:8
.LBB3_172:
	s_wait_alu 0xfffe
	s_or_b32 exec_lo, exec_lo, s12
	v_lshlrev_b64_e32 v[10:11], 12, v[10:11]
	s_mov_b32 s12, 0
	v_cndmask_b32_e64 v2, -1, v34, s2
	s_wait_alu 0xfffe
	s_mov_b32 s13, s12
	s_mov_b32 s14, s12
	;; [unrolled: 1-line block ×3, first 2 shown]
	v_add_co_u32 v6, vcc_lo, v6, v10
	s_wait_alu 0xfffd
	v_add_co_ci_u32_e64 v7, null, v7, v11, vcc_lo
	v_and_or_b32 v0, 0xffffff1f, v0, 32
	s_delay_alu instid0(VALU_DEP_3) | instskip(SKIP_1) | instid1(VALU_DEP_4)
	v_readfirstlane_b32 s16, v6
	v_add_co_u32 v6, vcc_lo, v6, v32
	v_readfirstlane_b32 s17, v7
	s_wait_alu 0xfffe
	v_dual_mov_b32 v10, s12 :: v_dual_mov_b32 v11, s13
	s_wait_alu 0xfffd
	v_add_co_ci_u32_e64 v7, null, 0, v7, vcc_lo
	v_dual_mov_b32 v12, s14 :: v_dual_mov_b32 v13, s15
	s_clause 0x3
	global_store_b128 v32, v[0:3], s[16:17]
	global_store_b128 v32, v[10:13], s[16:17] offset:16
	global_store_b128 v32, v[10:13], s[16:17] offset:32
	;; [unrolled: 1-line block ×3, first 2 shown]
	s_and_saveexec_b32 s2, s3
	s_cbranch_execz .LBB3_179
; %bb.173:
	v_mov_b32_e32 v10, 0
	s_mov_b32 s11, exec_lo
	s_clause 0x1
	global_load_b64 v[13:14], v10, s[6:7] offset:32 scope:SCOPE_SYS
	global_load_b64 v[0:1], v10, s[6:7] offset:40
	v_dual_mov_b32 v11, s8 :: v_dual_mov_b32 v12, s9
	s_wait_loadcnt 0x0
	v_and_b32_e32 v1, s9, v1
	v_and_b32_e32 v0, s8, v0
	s_delay_alu instid0(VALU_DEP_2) | instskip(NEXT) | instid1(VALU_DEP_2)
	v_mul_lo_u32 v1, 24, v1
	v_mul_lo_u32 v2, 0, v0
	v_mul_hi_u32 v3, 24, v0
	v_mul_lo_u32 v0, 24, v0
	s_delay_alu instid0(VALU_DEP_3) | instskip(NEXT) | instid1(VALU_DEP_2)
	v_add_nc_u32_e32 v1, v1, v2
	v_add_co_u32 v4, vcc_lo, v4, v0
	s_delay_alu instid0(VALU_DEP_2) | instskip(SKIP_1) | instid1(VALU_DEP_1)
	v_add_nc_u32_e32 v1, v1, v3
	s_wait_alu 0xfffd
	v_add_co_ci_u32_e64 v5, null, v5, v1, vcc_lo
	global_store_b64 v[4:5], v[13:14], off
	global_wb scope:SCOPE_SYS
	s_wait_storecnt 0x0
	global_atomic_cmpswap_b64 v[2:3], v10, v[11:14], s[6:7] offset:32 th:TH_ATOMIC_RETURN scope:SCOPE_SYS
	s_wait_loadcnt 0x0
	v_cmpx_ne_u64_e64 v[2:3], v[13:14]
	s_cbranch_execz .LBB3_175
.LBB3_174:                              ; =>This Inner Loop Header: Depth=1
	v_dual_mov_b32 v0, s8 :: v_dual_mov_b32 v1, s9
	s_sleep 1
	global_store_b64 v[4:5], v[2:3], off
	global_wb scope:SCOPE_SYS
	s_wait_storecnt 0x0
	global_atomic_cmpswap_b64 v[0:1], v10, v[0:3], s[6:7] offset:32 th:TH_ATOMIC_RETURN scope:SCOPE_SYS
	s_wait_loadcnt 0x0
	v_cmp_eq_u64_e32 vcc_lo, v[0:1], v[2:3]
	v_dual_mov_b32 v3, v1 :: v_dual_mov_b32 v2, v0
	s_or_b32 s12, vcc_lo, s12
	s_wait_alu 0xfffe
	s_and_not1_b32 exec_lo, exec_lo, s12
	s_cbranch_execnz .LBB3_174
.LBB3_175:
	s_wait_alu 0xfffe
	s_or_b32 exec_lo, exec_lo, s11
	v_mov_b32_e32 v3, 0
	s_mov_b32 s12, exec_lo
	s_mov_b32 s11, exec_lo
	s_wait_alu 0xfffe
	v_mbcnt_lo_u32_b32 v2, s12, 0
	global_load_b64 v[0:1], v3, s[6:7] offset:16
	v_cmpx_eq_u32_e32 0, v2
	s_cbranch_execz .LBB3_177
; %bb.176:
	s_bcnt1_i32_b32 s12, s12
	s_wait_alu 0xfffe
	v_mov_b32_e32 v2, s12
	global_wb scope:SCOPE_SYS
	s_wait_loadcnt 0x0
	s_wait_storecnt 0x0
	global_atomic_add_u64 v[0:1], v[2:3], off offset:8 scope:SCOPE_SYS
.LBB3_177:
	s_or_b32 exec_lo, exec_lo, s11
	s_wait_loadcnt 0x0
	global_load_b64 v[2:3], v[0:1], off offset:16
	s_wait_loadcnt 0x0
	v_cmp_eq_u64_e32 vcc_lo, 0, v[2:3]
	s_cbranch_vccnz .LBB3_179
; %bb.178:
	global_load_b32 v0, v[0:1], off offset:24
	v_mov_b32_e32 v1, 0
	s_wait_loadcnt 0x0
	v_readfirstlane_b32 s11, v0
	global_wb scope:SCOPE_SYS
	s_wait_storecnt 0x0
	global_store_b64 v[2:3], v[0:1], off scope:SCOPE_SYS
	s_and_b32 m0, s11, 0xffffff
	s_sendmsg sendmsg(MSG_INTERRUPT)
.LBB3_179:
	s_wait_alu 0xfffe
	s_or_b32 exec_lo, exec_lo, s2
	s_branch .LBB3_183
.LBB3_180:                              ;   in Loop: Header=BB3_183 Depth=1
	s_wait_alu 0xfffe
	s_or_b32 exec_lo, exec_lo, s2
	s_delay_alu instid0(VALU_DEP_1)
	v_readfirstlane_b32 s2, v0
	s_cmp_eq_u32 s2, 0
	s_cbranch_scc1 .LBB3_182
; %bb.181:                              ;   in Loop: Header=BB3_183 Depth=1
	s_sleep 1
	s_cbranch_execnz .LBB3_183
	s_branch .LBB3_185
.LBB3_182:
	s_branch .LBB3_185
.LBB3_183:                              ; =>This Inner Loop Header: Depth=1
	v_mov_b32_e32 v0, 1
	s_and_saveexec_b32 s2, s3
	s_cbranch_execz .LBB3_180
; %bb.184:                              ;   in Loop: Header=BB3_183 Depth=1
	global_load_b32 v0, v[8:9], off offset:20 scope:SCOPE_SYS
	s_wait_loadcnt 0x0
	global_inv scope:SCOPE_SYS
	v_and_b32_e32 v0, 1, v0
	s_branch .LBB3_180
.LBB3_185:
	global_load_b64 v[0:1], v[6:7], off
	s_and_saveexec_b32 s11, s3
	s_cbranch_execz .LBB3_189
; %bb.186:
	v_mov_b32_e32 v8, 0
	s_clause 0x2
	global_load_b64 v[2:3], v8, s[6:7] offset:40
	global_load_b64 v[11:12], v8, s[6:7] offset:24 scope:SCOPE_SYS
	global_load_b64 v[4:5], v8, s[6:7]
	s_wait_loadcnt 0x2
	v_readfirstlane_b32 s12, v2
	v_readfirstlane_b32 s13, v3
	s_add_nc_u64 s[2:3], s[12:13], 1
	s_wait_alu 0xfffe
	s_add_nc_u64 s[8:9], s[2:3], s[8:9]
	s_wait_alu 0xfffe
	s_cmp_eq_u64 s[8:9], 0
	s_cselect_b32 s3, s3, s9
	s_cselect_b32 s2, s2, s8
	s_wait_alu 0xfffe
	v_mov_b32_e32 v10, s3
	s_and_b64 s[8:9], s[2:3], s[12:13]
	v_mov_b32_e32 v9, s2
	s_wait_alu 0xfffe
	s_mul_u64 s[8:9], s[8:9], 24
	s_wait_loadcnt 0x0
	s_wait_alu 0xfffe
	v_add_co_u32 v6, vcc_lo, v4, s8
	s_wait_alu 0xfffd
	v_add_co_ci_u32_e64 v7, null, s9, v5, vcc_lo
	global_store_b64 v[6:7], v[11:12], off
	global_wb scope:SCOPE_SYS
	s_wait_storecnt 0x0
	global_atomic_cmpswap_b64 v[4:5], v8, v[9:12], s[6:7] offset:24 th:TH_ATOMIC_RETURN scope:SCOPE_SYS
	s_wait_loadcnt 0x0
	v_cmp_ne_u64_e32 vcc_lo, v[4:5], v[11:12]
	s_and_b32 exec_lo, exec_lo, vcc_lo
	s_cbranch_execz .LBB3_189
; %bb.187:
	s_mov_b32 s8, 0
.LBB3_188:                              ; =>This Inner Loop Header: Depth=1
	v_dual_mov_b32 v2, s2 :: v_dual_mov_b32 v3, s3
	s_sleep 1
	global_store_b64 v[6:7], v[4:5], off
	global_wb scope:SCOPE_SYS
	s_wait_storecnt 0x0
	global_atomic_cmpswap_b64 v[2:3], v8, v[2:5], s[6:7] offset:24 th:TH_ATOMIC_RETURN scope:SCOPE_SYS
	s_wait_loadcnt 0x0
	v_cmp_eq_u64_e32 vcc_lo, v[2:3], v[4:5]
	v_dual_mov_b32 v5, v3 :: v_dual_mov_b32 v4, v2
	s_wait_alu 0xfffe
	s_or_b32 s8, vcc_lo, s8
	s_wait_alu 0xfffe
	s_and_not1_b32 exec_lo, exec_lo, s8
	s_cbranch_execnz .LBB3_188
.LBB3_189:
	s_wait_alu 0xfffe
	s_or_b32 exec_lo, exec_lo, s11
	v_readfirstlane_b32 s2, v33
	v_mov_b32_e32 v8, 0
	v_mov_b32_e32 v9, 0
	s_wait_alu 0xf1ff
	s_delay_alu instid0(VALU_DEP_3)
	v_cmp_eq_u32_e64 s2, s2, v33
	s_and_saveexec_b32 s3, s2
	s_cbranch_execz .LBB3_195
; %bb.190:
	v_mov_b32_e32 v2, 0
	s_mov_b32 s8, exec_lo
	global_load_b64 v[5:6], v2, s[6:7] offset:24 scope:SCOPE_SYS
	s_wait_loadcnt 0x0
	global_inv scope:SCOPE_SYS
	s_clause 0x1
	global_load_b64 v[3:4], v2, s[6:7] offset:40
	global_load_b64 v[7:8], v2, s[6:7]
	s_wait_loadcnt 0x1
	v_and_b32_e32 v4, v4, v6
	v_and_b32_e32 v3, v3, v5
	s_delay_alu instid0(VALU_DEP_2) | instskip(NEXT) | instid1(VALU_DEP_2)
	v_mul_lo_u32 v4, 24, v4
	v_mul_lo_u32 v9, 0, v3
	v_mul_hi_u32 v10, 24, v3
	v_mul_lo_u32 v3, 24, v3
	s_delay_alu instid0(VALU_DEP_3) | instskip(SKIP_1) | instid1(VALU_DEP_2)
	v_add_nc_u32_e32 v4, v4, v9
	s_wait_loadcnt 0x0
	v_add_co_u32 v3, vcc_lo, v7, v3
	s_delay_alu instid0(VALU_DEP_2) | instskip(SKIP_1) | instid1(VALU_DEP_1)
	v_add_nc_u32_e32 v4, v4, v10
	s_wait_alu 0xfffd
	v_add_co_ci_u32_e64 v4, null, v8, v4, vcc_lo
	global_load_b64 v[3:4], v[3:4], off scope:SCOPE_SYS
	s_wait_loadcnt 0x0
	global_atomic_cmpswap_b64 v[8:9], v2, v[3:6], s[6:7] offset:24 th:TH_ATOMIC_RETURN scope:SCOPE_SYS
	s_wait_loadcnt 0x0
	global_inv scope:SCOPE_SYS
	v_cmpx_ne_u64_e64 v[8:9], v[5:6]
	s_cbranch_execz .LBB3_194
; %bb.191:
	s_mov_b32 s9, 0
.LBB3_192:                              ; =>This Inner Loop Header: Depth=1
	s_sleep 1
	s_clause 0x1
	global_load_b64 v[3:4], v2, s[6:7] offset:40
	global_load_b64 v[10:11], v2, s[6:7]
	v_dual_mov_b32 v5, v8 :: v_dual_mov_b32 v6, v9
	s_wait_loadcnt 0x1
	s_delay_alu instid0(VALU_DEP_1) | instskip(NEXT) | instid1(VALU_DEP_2)
	v_and_b32_e32 v3, v3, v5
	v_and_b32_e32 v4, v4, v6
	s_wait_loadcnt 0x0
	s_delay_alu instid0(VALU_DEP_2) | instskip(NEXT) | instid1(VALU_DEP_1)
	v_mad_co_u64_u32 v[7:8], null, v3, 24, v[10:11]
	v_mov_b32_e32 v3, v8
	s_delay_alu instid0(VALU_DEP_1) | instskip(NEXT) | instid1(VALU_DEP_1)
	v_mad_co_u64_u32 v[3:4], null, v4, 24, v[3:4]
	v_mov_b32_e32 v8, v3
	global_load_b64 v[3:4], v[7:8], off scope:SCOPE_SYS
	s_wait_loadcnt 0x0
	global_atomic_cmpswap_b64 v[8:9], v2, v[3:6], s[6:7] offset:24 th:TH_ATOMIC_RETURN scope:SCOPE_SYS
	s_wait_loadcnt 0x0
	global_inv scope:SCOPE_SYS
	v_cmp_eq_u64_e32 vcc_lo, v[8:9], v[5:6]
	s_wait_alu 0xfffe
	s_or_b32 s9, vcc_lo, s9
	s_wait_alu 0xfffe
	s_and_not1_b32 exec_lo, exec_lo, s9
	s_cbranch_execnz .LBB3_192
; %bb.193:
	s_or_b32 exec_lo, exec_lo, s9
.LBB3_194:
	s_wait_alu 0xfffe
	s_or_b32 exec_lo, exec_lo, s8
.LBB3_195:
	s_wait_alu 0xfffe
	s_or_b32 exec_lo, exec_lo, s3
	v_readfirstlane_b32 s8, v8
	v_mov_b32_e32 v3, 0
	v_readfirstlane_b32 s9, v9
	s_mov_b32 s3, exec_lo
	s_clause 0x1
	global_load_b64 v[10:11], v3, s[6:7] offset:40
	global_load_b128 v[4:7], v3, s[6:7]
	s_wait_loadcnt 0x1
	s_wait_alu 0xf1ff
	v_and_b32_e32 v11, s9, v11
	v_and_b32_e32 v10, s8, v10
	s_delay_alu instid0(VALU_DEP_2) | instskip(NEXT) | instid1(VALU_DEP_2)
	v_mul_lo_u32 v2, 24, v11
	v_mul_lo_u32 v8, 0, v10
	v_mul_hi_u32 v9, 24, v10
	v_mul_lo_u32 v12, 24, v10
	s_delay_alu instid0(VALU_DEP_3) | instskip(SKIP_1) | instid1(VALU_DEP_2)
	v_add_nc_u32_e32 v2, v2, v8
	s_wait_loadcnt 0x0
	v_add_co_u32 v8, vcc_lo, v4, v12
	s_delay_alu instid0(VALU_DEP_2) | instskip(SKIP_1) | instid1(VALU_DEP_1)
	v_add_nc_u32_e32 v2, v2, v9
	s_wait_alu 0xfffd
	v_add_co_ci_u32_e64 v9, null, v5, v2, vcc_lo
	s_and_saveexec_b32 s11, s2
	s_cbranch_execz .LBB3_197
; %bb.196:
	s_wait_alu 0xfffe
	v_dual_mov_b32 v2, s3 :: v_dual_mov_b32 v15, 1
	v_dual_mov_b32 v14, 2 :: v_dual_mov_b32 v13, v3
	s_delay_alu instid0(VALU_DEP_2)
	v_mov_b32_e32 v12, v2
	global_store_b128 v[8:9], v[12:15], off offset:8
.LBB3_197:
	s_wait_alu 0xfffe
	s_or_b32 exec_lo, exec_lo, s11
	v_lshlrev_b64_e32 v[10:11], 12, v[10:11]
	s_mul_i32 s10, s10, s20
	s_mov_b32 s12, 0
	s_wait_alu 0xfffe
	s_lshr_b32 s3, s10, 1
	s_mov_b32 s13, s12
	s_mov_b32 s14, s12
	v_add_co_u32 v6, vcc_lo, v6, v10
	s_wait_alu 0xfffd
	v_add_co_ci_u32_e64 v7, null, v7, v11, vcc_lo
	s_mov_b32 s15, s12
	v_and_or_b32 v0, 0xffffff1d, v0, 34
	s_wait_alu 0xfffe
	v_mov_b32_e32 v2, s3
	v_readfirstlane_b32 s10, v6
	v_readfirstlane_b32 s11, v7
	v_dual_mov_b32 v10, s12 :: v_dual_mov_b32 v13, s15
	v_dual_mov_b32 v11, s13 :: v_dual_mov_b32 v12, s14
	s_clause 0x3
	global_store_b128 v32, v[0:3], s[10:11]
	global_store_b128 v32, v[10:13], s[10:11] offset:16
	global_store_b128 v32, v[10:13], s[10:11] offset:32
	;; [unrolled: 1-line block ×3, first 2 shown]
	s_and_saveexec_b32 s3, s2
	s_cbranch_execz .LBB3_205
; %bb.198:
	v_mov_b32_e32 v6, 0
	s_mov_b32 s10, exec_lo
	s_clause 0x1
	global_load_b64 v[12:13], v6, s[6:7] offset:32 scope:SCOPE_SYS
	global_load_b64 v[0:1], v6, s[6:7] offset:40
	v_dual_mov_b32 v11, s9 :: v_dual_mov_b32 v10, s8
	s_wait_loadcnt 0x0
	v_and_b32_e32 v1, s9, v1
	v_and_b32_e32 v0, s8, v0
	s_delay_alu instid0(VALU_DEP_2) | instskip(NEXT) | instid1(VALU_DEP_2)
	v_mul_lo_u32 v1, 24, v1
	v_mul_lo_u32 v2, 0, v0
	v_mul_hi_u32 v3, 24, v0
	v_mul_lo_u32 v0, 24, v0
	s_delay_alu instid0(VALU_DEP_3) | instskip(NEXT) | instid1(VALU_DEP_2)
	v_add_nc_u32_e32 v1, v1, v2
	v_add_co_u32 v4, vcc_lo, v4, v0
	s_delay_alu instid0(VALU_DEP_2) | instskip(SKIP_1) | instid1(VALU_DEP_1)
	v_add_nc_u32_e32 v1, v1, v3
	s_wait_alu 0xfffd
	v_add_co_ci_u32_e64 v5, null, v5, v1, vcc_lo
	global_store_b64 v[4:5], v[12:13], off
	global_wb scope:SCOPE_SYS
	s_wait_storecnt 0x0
	global_atomic_cmpswap_b64 v[2:3], v6, v[10:13], s[6:7] offset:32 th:TH_ATOMIC_RETURN scope:SCOPE_SYS
	s_wait_loadcnt 0x0
	v_cmpx_ne_u64_e64 v[2:3], v[12:13]
	s_cbranch_execz .LBB3_201
; %bb.199:
	s_mov_b32 s11, 0
.LBB3_200:                              ; =>This Inner Loop Header: Depth=1
	v_dual_mov_b32 v0, s8 :: v_dual_mov_b32 v1, s9
	s_sleep 1
	global_store_b64 v[4:5], v[2:3], off
	global_wb scope:SCOPE_SYS
	s_wait_storecnt 0x0
	global_atomic_cmpswap_b64 v[0:1], v6, v[0:3], s[6:7] offset:32 th:TH_ATOMIC_RETURN scope:SCOPE_SYS
	s_wait_loadcnt 0x0
	v_cmp_eq_u64_e32 vcc_lo, v[0:1], v[2:3]
	v_dual_mov_b32 v3, v1 :: v_dual_mov_b32 v2, v0
	s_wait_alu 0xfffe
	s_or_b32 s11, vcc_lo, s11
	s_wait_alu 0xfffe
	s_and_not1_b32 exec_lo, exec_lo, s11
	s_cbranch_execnz .LBB3_200
.LBB3_201:
	s_wait_alu 0xfffe
	s_or_b32 exec_lo, exec_lo, s10
	v_mov_b32_e32 v3, 0
	s_mov_b32 s11, exec_lo
	s_mov_b32 s10, exec_lo
	s_wait_alu 0xfffe
	v_mbcnt_lo_u32_b32 v2, s11, 0
	global_load_b64 v[0:1], v3, s[6:7] offset:16
	v_cmpx_eq_u32_e32 0, v2
	s_cbranch_execz .LBB3_203
; %bb.202:
	s_bcnt1_i32_b32 s11, s11
	s_wait_alu 0xfffe
	v_mov_b32_e32 v2, s11
	global_wb scope:SCOPE_SYS
	s_wait_loadcnt 0x0
	s_wait_storecnt 0x0
	global_atomic_add_u64 v[0:1], v[2:3], off offset:8 scope:SCOPE_SYS
.LBB3_203:
	s_or_b32 exec_lo, exec_lo, s10
	s_wait_loadcnt 0x0
	global_load_b64 v[2:3], v[0:1], off offset:16
	s_wait_loadcnt 0x0
	v_cmp_eq_u64_e32 vcc_lo, 0, v[2:3]
	s_cbranch_vccnz .LBB3_205
; %bb.204:
	global_load_b32 v0, v[0:1], off offset:24
	v_mov_b32_e32 v1, 0
	s_wait_loadcnt 0x0
	v_readfirstlane_b32 s10, v0
	global_wb scope:SCOPE_SYS
	s_wait_storecnt 0x0
	global_store_b64 v[2:3], v[0:1], off scope:SCOPE_SYS
	s_and_b32 m0, s10, 0xffffff
	s_sendmsg sendmsg(MSG_INTERRUPT)
.LBB3_205:
	s_wait_alu 0xfffe
	s_or_b32 exec_lo, exec_lo, s3
	s_branch .LBB3_209
.LBB3_206:                              ;   in Loop: Header=BB3_209 Depth=1
	s_wait_alu 0xfffe
	s_or_b32 exec_lo, exec_lo, s3
	s_delay_alu instid0(VALU_DEP_1)
	v_readfirstlane_b32 s3, v0
	s_cmp_eq_u32 s3, 0
	s_cbranch_scc1 .LBB3_208
; %bb.207:                              ;   in Loop: Header=BB3_209 Depth=1
	s_sleep 1
	s_cbranch_execnz .LBB3_209
	s_branch .LBB3_211
.LBB3_208:
	s_branch .LBB3_211
.LBB3_209:                              ; =>This Inner Loop Header: Depth=1
	v_mov_b32_e32 v0, 1
	s_and_saveexec_b32 s3, s2
	s_cbranch_execz .LBB3_206
; %bb.210:                              ;   in Loop: Header=BB3_209 Depth=1
	global_load_b32 v0, v[8:9], off offset:20 scope:SCOPE_SYS
	s_wait_loadcnt 0x0
	global_inv scope:SCOPE_SYS
	v_and_b32_e32 v0, 1, v0
	s_branch .LBB3_206
.LBB3_211:
	s_and_saveexec_b32 s10, s2
	s_cbranch_execz .LBB3_215
; %bb.212:
	v_mov_b32_e32 v6, 0
	s_clause 0x2
	global_load_b64 v[0:1], v6, s[6:7] offset:40
	global_load_b64 v[9:10], v6, s[6:7] offset:24 scope:SCOPE_SYS
	global_load_b64 v[2:3], v6, s[6:7]
	s_wait_loadcnt 0x2
	v_readfirstlane_b32 s12, v0
	v_readfirstlane_b32 s13, v1
	s_add_nc_u64 s[2:3], s[12:13], 1
	s_wait_alu 0xfffe
	s_add_nc_u64 s[8:9], s[2:3], s[8:9]
	s_wait_alu 0xfffe
	s_cmp_eq_u64 s[8:9], 0
	s_cselect_b32 s3, s3, s9
	s_cselect_b32 s2, s2, s8
	s_wait_alu 0xfffe
	v_mov_b32_e32 v8, s3
	s_and_b64 s[8:9], s[2:3], s[12:13]
	v_mov_b32_e32 v7, s2
	s_wait_alu 0xfffe
	s_mul_u64 s[8:9], s[8:9], 24
	s_wait_loadcnt 0x0
	s_wait_alu 0xfffe
	v_add_co_u32 v4, vcc_lo, v2, s8
	s_wait_alu 0xfffd
	v_add_co_ci_u32_e64 v5, null, s9, v3, vcc_lo
	global_store_b64 v[4:5], v[9:10], off
	global_wb scope:SCOPE_SYS
	s_wait_storecnt 0x0
	global_atomic_cmpswap_b64 v[2:3], v6, v[7:10], s[6:7] offset:24 th:TH_ATOMIC_RETURN scope:SCOPE_SYS
	s_wait_loadcnt 0x0
	v_cmp_ne_u64_e32 vcc_lo, v[2:3], v[9:10]
	s_and_b32 exec_lo, exec_lo, vcc_lo
	s_cbranch_execz .LBB3_215
; %bb.213:
	s_mov_b32 s8, 0
.LBB3_214:                              ; =>This Inner Loop Header: Depth=1
	v_dual_mov_b32 v0, s2 :: v_dual_mov_b32 v1, s3
	s_sleep 1
	global_store_b64 v[4:5], v[2:3], off
	global_wb scope:SCOPE_SYS
	s_wait_storecnt 0x0
	global_atomic_cmpswap_b64 v[0:1], v6, v[0:3], s[6:7] offset:24 th:TH_ATOMIC_RETURN scope:SCOPE_SYS
	s_wait_loadcnt 0x0
	v_cmp_eq_u64_e32 vcc_lo, v[0:1], v[2:3]
	v_dual_mov_b32 v3, v1 :: v_dual_mov_b32 v2, v0
	s_wait_alu 0xfffe
	s_or_b32 s8, vcc_lo, s8
	s_wait_alu 0xfffe
	s_and_not1_b32 exec_lo, exec_lo, s8
	s_cbranch_execnz .LBB3_214
.LBB3_215:
	s_wait_alu 0xfffe
	s_or_b32 exec_lo, exec_lo, s10
	v_readfirstlane_b32 s2, v33
	v_mov_b32_e32 v6, 0
	v_mov_b32_e32 v7, 0
	s_wait_alu 0xf1ff
	s_delay_alu instid0(VALU_DEP_3)
	v_cmp_eq_u32_e64 s2, s2, v33
	s_and_saveexec_b32 s3, s2
	s_cbranch_execz .LBB3_221
; %bb.216:
	v_mov_b32_e32 v0, 0
	s_mov_b32 s8, exec_lo
	global_load_b64 v[3:4], v0, s[6:7] offset:24 scope:SCOPE_SYS
	s_wait_loadcnt 0x0
	global_inv scope:SCOPE_SYS
	s_clause 0x1
	global_load_b64 v[1:2], v0, s[6:7] offset:40
	global_load_b64 v[5:6], v0, s[6:7]
	s_wait_loadcnt 0x1
	v_and_b32_e32 v2, v2, v4
	v_and_b32_e32 v1, v1, v3
	s_delay_alu instid0(VALU_DEP_2) | instskip(NEXT) | instid1(VALU_DEP_2)
	v_mul_lo_u32 v2, 24, v2
	v_mul_lo_u32 v7, 0, v1
	v_mul_hi_u32 v8, 24, v1
	v_mul_lo_u32 v1, 24, v1
	s_delay_alu instid0(VALU_DEP_3) | instskip(SKIP_1) | instid1(VALU_DEP_2)
	v_add_nc_u32_e32 v2, v2, v7
	s_wait_loadcnt 0x0
	v_add_co_u32 v1, vcc_lo, v5, v1
	s_delay_alu instid0(VALU_DEP_2) | instskip(SKIP_1) | instid1(VALU_DEP_1)
	v_add_nc_u32_e32 v2, v2, v8
	s_wait_alu 0xfffd
	v_add_co_ci_u32_e64 v2, null, v6, v2, vcc_lo
	global_load_b64 v[1:2], v[1:2], off scope:SCOPE_SYS
	s_wait_loadcnt 0x0
	global_atomic_cmpswap_b64 v[6:7], v0, v[1:4], s[6:7] offset:24 th:TH_ATOMIC_RETURN scope:SCOPE_SYS
	s_wait_loadcnt 0x0
	global_inv scope:SCOPE_SYS
	v_cmpx_ne_u64_e64 v[6:7], v[3:4]
	s_cbranch_execz .LBB3_220
; %bb.217:
	s_mov_b32 s9, 0
.LBB3_218:                              ; =>This Inner Loop Header: Depth=1
	s_sleep 1
	s_clause 0x1
	global_load_b64 v[1:2], v0, s[6:7] offset:40
	global_load_b64 v[8:9], v0, s[6:7]
	v_dual_mov_b32 v3, v6 :: v_dual_mov_b32 v4, v7
	s_wait_loadcnt 0x1
	s_delay_alu instid0(VALU_DEP_1) | instskip(NEXT) | instid1(VALU_DEP_2)
	v_and_b32_e32 v1, v1, v3
	v_and_b32_e32 v2, v2, v4
	s_wait_loadcnt 0x0
	s_delay_alu instid0(VALU_DEP_2) | instskip(NEXT) | instid1(VALU_DEP_1)
	v_mad_co_u64_u32 v[5:6], null, v1, 24, v[8:9]
	v_mov_b32_e32 v1, v6
	s_delay_alu instid0(VALU_DEP_1) | instskip(NEXT) | instid1(VALU_DEP_1)
	v_mad_co_u64_u32 v[1:2], null, v2, 24, v[1:2]
	v_mov_b32_e32 v6, v1
	global_load_b64 v[1:2], v[5:6], off scope:SCOPE_SYS
	s_wait_loadcnt 0x0
	global_atomic_cmpswap_b64 v[6:7], v0, v[1:4], s[6:7] offset:24 th:TH_ATOMIC_RETURN scope:SCOPE_SYS
	s_wait_loadcnt 0x0
	global_inv scope:SCOPE_SYS
	v_cmp_eq_u64_e32 vcc_lo, v[6:7], v[3:4]
	s_wait_alu 0xfffe
	s_or_b32 s9, vcc_lo, s9
	s_wait_alu 0xfffe
	s_and_not1_b32 exec_lo, exec_lo, s9
	s_cbranch_execnz .LBB3_218
; %bb.219:
	s_or_b32 exec_lo, exec_lo, s9
.LBB3_220:
	s_wait_alu 0xfffe
	s_or_b32 exec_lo, exec_lo, s8
.LBB3_221:
	s_wait_alu 0xfffe
	s_or_b32 exec_lo, exec_lo, s3
	v_readfirstlane_b32 s8, v6
	v_mov_b32_e32 v5, 0
	v_readfirstlane_b32 s9, v7
	s_mov_b32 s3, exec_lo
	s_clause 0x1
	global_load_b64 v[8:9], v5, s[6:7] offset:40
	global_load_b128 v[0:3], v5, s[6:7]
	s_wait_loadcnt 0x1
	s_wait_alu 0xf1ff
	v_and_b32_e32 v11, s9, v9
	v_and_b32_e32 v10, s8, v8
	s_delay_alu instid0(VALU_DEP_2) | instskip(NEXT) | instid1(VALU_DEP_2)
	v_mul_lo_u32 v4, 24, v11
	v_mul_lo_u32 v6, 0, v10
	v_mul_hi_u32 v7, 24, v10
	v_mul_lo_u32 v8, 24, v10
	s_delay_alu instid0(VALU_DEP_3) | instskip(SKIP_1) | instid1(VALU_DEP_2)
	v_add_nc_u32_e32 v4, v4, v6
	s_wait_loadcnt 0x0
	v_add_co_u32 v8, vcc_lo, v0, v8
	s_delay_alu instid0(VALU_DEP_2) | instskip(SKIP_1) | instid1(VALU_DEP_1)
	v_add_nc_u32_e32 v4, v4, v7
	s_wait_alu 0xfffd
	v_add_co_ci_u32_e64 v9, null, v1, v4, vcc_lo
	s_and_saveexec_b32 s10, s2
	s_cbranch_execz .LBB3_223
; %bb.222:
	s_wait_alu 0xfffe
	v_dual_mov_b32 v4, s3 :: v_dual_mov_b32 v7, 1
	v_mov_b32_e32 v6, 2
	global_store_b128 v[8:9], v[4:7], off offset:8
.LBB3_223:
	s_wait_alu 0xfffe
	s_or_b32 exec_lo, exec_lo, s10
	v_lshlrev_b64_e32 v[10:11], 12, v[10:11]
	s_mov_b32 s12, 0
	v_dual_mov_b32 v4, 33 :: v_dual_mov_b32 v7, v5
	s_wait_alu 0xfffe
	s_mov_b32 s13, s12
	s_mov_b32 s14, s12
	v_add_co_u32 v2, vcc_lo, v2, v10
	s_wait_alu 0xfffd
	v_add_co_ci_u32_e64 v3, null, v3, v11, vcc_lo
	s_mov_b32 s15, s12
	v_add_co_u32 v10, vcc_lo, v2, v32
	v_mov_b32_e32 v6, v5
	v_readfirstlane_b32 s10, v2
	v_readfirstlane_b32 s11, v3
	s_wait_alu 0xfffe
	v_dual_mov_b32 v12, s12 :: v_dual_mov_b32 v15, s15
	s_wait_alu 0xfffd
	v_add_co_ci_u32_e64 v11, null, 0, v3, vcc_lo
	v_dual_mov_b32 v13, s13 :: v_dual_mov_b32 v14, s14
	s_clause 0x3
	global_store_b128 v32, v[4:7], s[10:11]
	global_store_b128 v32, v[12:15], s[10:11] offset:16
	global_store_b128 v32, v[12:15], s[10:11] offset:32
	;; [unrolled: 1-line block ×3, first 2 shown]
	s_and_saveexec_b32 s3, s2
	s_cbranch_execz .LBB3_231
; %bb.224:
	v_mov_b32_e32 v6, 0
	s_mov_b32 s10, exec_lo
	s_clause 0x1
	global_load_b64 v[14:15], v6, s[6:7] offset:32 scope:SCOPE_SYS
	global_load_b64 v[2:3], v6, s[6:7] offset:40
	v_dual_mov_b32 v13, s9 :: v_dual_mov_b32 v12, s8
	s_wait_loadcnt 0x0
	v_and_b32_e32 v3, s9, v3
	v_and_b32_e32 v2, s8, v2
	s_delay_alu instid0(VALU_DEP_2) | instskip(NEXT) | instid1(VALU_DEP_2)
	v_mul_lo_u32 v3, 24, v3
	v_mul_lo_u32 v4, 0, v2
	v_mul_hi_u32 v5, 24, v2
	v_mul_lo_u32 v2, 24, v2
	s_delay_alu instid0(VALU_DEP_3) | instskip(NEXT) | instid1(VALU_DEP_2)
	v_add_nc_u32_e32 v3, v3, v4
	v_add_co_u32 v4, vcc_lo, v0, v2
	s_delay_alu instid0(VALU_DEP_2) | instskip(SKIP_1) | instid1(VALU_DEP_1)
	v_add_nc_u32_e32 v3, v3, v5
	s_wait_alu 0xfffd
	v_add_co_ci_u32_e64 v5, null, v1, v3, vcc_lo
	global_store_b64 v[4:5], v[14:15], off
	global_wb scope:SCOPE_SYS
	s_wait_storecnt 0x0
	global_atomic_cmpswap_b64 v[2:3], v6, v[12:15], s[6:7] offset:32 th:TH_ATOMIC_RETURN scope:SCOPE_SYS
	s_wait_loadcnt 0x0
	v_cmpx_ne_u64_e64 v[2:3], v[14:15]
	s_cbranch_execz .LBB3_227
; %bb.225:
	s_mov_b32 s11, 0
.LBB3_226:                              ; =>This Inner Loop Header: Depth=1
	v_dual_mov_b32 v0, s8 :: v_dual_mov_b32 v1, s9
	s_sleep 1
	global_store_b64 v[4:5], v[2:3], off
	global_wb scope:SCOPE_SYS
	s_wait_storecnt 0x0
	global_atomic_cmpswap_b64 v[0:1], v6, v[0:3], s[6:7] offset:32 th:TH_ATOMIC_RETURN scope:SCOPE_SYS
	s_wait_loadcnt 0x0
	v_cmp_eq_u64_e32 vcc_lo, v[0:1], v[2:3]
	v_dual_mov_b32 v3, v1 :: v_dual_mov_b32 v2, v0
	s_wait_alu 0xfffe
	s_or_b32 s11, vcc_lo, s11
	s_wait_alu 0xfffe
	s_and_not1_b32 exec_lo, exec_lo, s11
	s_cbranch_execnz .LBB3_226
.LBB3_227:
	s_wait_alu 0xfffe
	s_or_b32 exec_lo, exec_lo, s10
	v_mov_b32_e32 v3, 0
	s_mov_b32 s11, exec_lo
	s_mov_b32 s10, exec_lo
	s_wait_alu 0xfffe
	v_mbcnt_lo_u32_b32 v2, s11, 0
	global_load_b64 v[0:1], v3, s[6:7] offset:16
	v_cmpx_eq_u32_e32 0, v2
	s_cbranch_execz .LBB3_229
; %bb.228:
	s_bcnt1_i32_b32 s11, s11
	s_wait_alu 0xfffe
	v_mov_b32_e32 v2, s11
	global_wb scope:SCOPE_SYS
	s_wait_loadcnt 0x0
	s_wait_storecnt 0x0
	global_atomic_add_u64 v[0:1], v[2:3], off offset:8 scope:SCOPE_SYS
.LBB3_229:
	s_or_b32 exec_lo, exec_lo, s10
	s_wait_loadcnt 0x0
	global_load_b64 v[2:3], v[0:1], off offset:16
	s_wait_loadcnt 0x0
	v_cmp_eq_u64_e32 vcc_lo, 0, v[2:3]
	s_cbranch_vccnz .LBB3_231
; %bb.230:
	global_load_b32 v0, v[0:1], off offset:24
	v_mov_b32_e32 v1, 0
	s_wait_loadcnt 0x0
	v_readfirstlane_b32 s10, v0
	global_wb scope:SCOPE_SYS
	s_wait_storecnt 0x0
	global_store_b64 v[2:3], v[0:1], off scope:SCOPE_SYS
	s_and_b32 m0, s10, 0xffffff
	s_sendmsg sendmsg(MSG_INTERRUPT)
.LBB3_231:
	s_wait_alu 0xfffe
	s_or_b32 exec_lo, exec_lo, s3
	s_branch .LBB3_235
.LBB3_232:                              ;   in Loop: Header=BB3_235 Depth=1
	s_wait_alu 0xfffe
	s_or_b32 exec_lo, exec_lo, s3
	s_delay_alu instid0(VALU_DEP_1)
	v_readfirstlane_b32 s3, v0
	s_cmp_eq_u32 s3, 0
	s_cbranch_scc1 .LBB3_234
; %bb.233:                              ;   in Loop: Header=BB3_235 Depth=1
	s_sleep 1
	s_cbranch_execnz .LBB3_235
	s_branch .LBB3_237
.LBB3_234:
	s_branch .LBB3_237
.LBB3_235:                              ; =>This Inner Loop Header: Depth=1
	v_mov_b32_e32 v0, 1
	s_and_saveexec_b32 s3, s2
	s_cbranch_execz .LBB3_232
; %bb.236:                              ;   in Loop: Header=BB3_235 Depth=1
	global_load_b32 v0, v[8:9], off offset:20 scope:SCOPE_SYS
	s_wait_loadcnt 0x0
	global_inv scope:SCOPE_SYS
	v_and_b32_e32 v0, 1, v0
	s_branch .LBB3_232
.LBB3_237:
	global_load_b64 v[0:1], v[10:11], off
	s_and_saveexec_b32 s10, s2
	s_cbranch_execz .LBB3_241
; %bb.238:
	v_mov_b32_e32 v8, 0
	s_clause 0x2
	global_load_b64 v[2:3], v8, s[6:7] offset:40
	global_load_b64 v[11:12], v8, s[6:7] offset:24 scope:SCOPE_SYS
	global_load_b64 v[4:5], v8, s[6:7]
	s_wait_loadcnt 0x2
	v_readfirstlane_b32 s12, v2
	v_readfirstlane_b32 s13, v3
	s_add_nc_u64 s[2:3], s[12:13], 1
	s_wait_alu 0xfffe
	s_add_nc_u64 s[8:9], s[2:3], s[8:9]
	s_wait_alu 0xfffe
	s_cmp_eq_u64 s[8:9], 0
	s_cselect_b32 s3, s3, s9
	s_cselect_b32 s2, s2, s8
	s_wait_alu 0xfffe
	v_mov_b32_e32 v10, s3
	s_and_b64 s[8:9], s[2:3], s[12:13]
	v_mov_b32_e32 v9, s2
	s_wait_alu 0xfffe
	s_mul_u64 s[8:9], s[8:9], 24
	s_wait_loadcnt 0x0
	s_wait_alu 0xfffe
	v_add_co_u32 v6, vcc_lo, v4, s8
	s_wait_alu 0xfffd
	v_add_co_ci_u32_e64 v7, null, s9, v5, vcc_lo
	global_store_b64 v[6:7], v[11:12], off
	global_wb scope:SCOPE_SYS
	s_wait_storecnt 0x0
	global_atomic_cmpswap_b64 v[4:5], v8, v[9:12], s[6:7] offset:24 th:TH_ATOMIC_RETURN scope:SCOPE_SYS
	s_wait_loadcnt 0x0
	v_cmp_ne_u64_e32 vcc_lo, v[4:5], v[11:12]
	s_and_b32 exec_lo, exec_lo, vcc_lo
	s_cbranch_execz .LBB3_241
; %bb.239:
	s_mov_b32 s8, 0
.LBB3_240:                              ; =>This Inner Loop Header: Depth=1
	v_dual_mov_b32 v2, s2 :: v_dual_mov_b32 v3, s3
	s_sleep 1
	global_store_b64 v[6:7], v[4:5], off
	global_wb scope:SCOPE_SYS
	s_wait_storecnt 0x0
	global_atomic_cmpswap_b64 v[2:3], v8, v[2:5], s[6:7] offset:24 th:TH_ATOMIC_RETURN scope:SCOPE_SYS
	s_wait_loadcnt 0x0
	v_cmp_eq_u64_e32 vcc_lo, v[2:3], v[4:5]
	v_dual_mov_b32 v5, v3 :: v_dual_mov_b32 v4, v2
	s_wait_alu 0xfffe
	s_or_b32 s8, vcc_lo, s8
	s_wait_alu 0xfffe
	s_and_not1_b32 exec_lo, exec_lo, s8
	s_cbranch_execnz .LBB3_240
.LBB3_241:
	s_wait_alu 0xfffe
	s_or_b32 exec_lo, exec_lo, s10
	s_getpc_b64 s[8:9]
	s_wait_alu 0xfffe
	s_sext_i32_i16 s9, s9
	s_add_co_u32 s8, s8, .str.1@rel32@lo+12
	s_wait_alu 0xfffe
	s_add_co_ci_u32 s9, s9, .str.1@rel32@hi+24
	s_wait_alu 0xfffe
	s_cmp_lg_u64 s[8:9], 0
	s_cbranch_scc0 .LBB3_320
; %bb.242:
	s_wait_loadcnt 0x0
	v_dual_mov_b32 v7, 0 :: v_dual_and_b32 v34, 2, v0
	v_dual_mov_b32 v3, v1 :: v_dual_and_b32 v2, -3, v0
	v_dual_mov_b32 v8, 2 :: v_dual_mov_b32 v9, 1
	s_mov_b64 s[10:11], 48
	s_branch .LBB3_244
.LBB3_243:                              ;   in Loop: Header=BB3_244 Depth=1
	s_wait_alu 0xfffe
	s_or_b32 exec_lo, exec_lo, s16
	s_sub_nc_u64 s[10:11], s[10:11], s[12:13]
	s_add_nc_u64 s[8:9], s[8:9], s[12:13]
	s_wait_alu 0xfffe
	s_cmp_lg_u64 s[10:11], 0
	s_cbranch_scc0 .LBB3_319
.LBB3_244:                              ; =>This Loop Header: Depth=1
                                        ;     Child Loop BB3_247 Depth 2
                                        ;     Child Loop BB3_254 Depth 2
	;; [unrolled: 1-line block ×11, first 2 shown]
	s_wait_alu 0xfffe
	v_cmp_lt_u64_e64 s2, s[10:11], 56
	v_cmp_gt_u64_e64 s3, s[10:11], 7
	s_and_b32 s2, s2, exec_lo
	s_cselect_b32 s13, s11, 0
	s_cselect_b32 s12, s10, 56
	s_and_b32 vcc_lo, exec_lo, s3
	s_wait_alu 0xfffe
	s_cbranch_vccnz .LBB3_249
; %bb.245:                              ;   in Loop: Header=BB3_244 Depth=1
	v_mov_b32_e32 v4, 0
	v_mov_b32_e32 v5, 0
	s_cmp_eq_u64 s[10:11], 0
	s_cbranch_scc1 .LBB3_248
; %bb.246:                              ;   in Loop: Header=BB3_244 Depth=1
	s_mov_b64 s[2:3], 0
	s_mov_b64 s[14:15], 0
.LBB3_247:                              ;   Parent Loop BB3_244 Depth=1
                                        ; =>  This Inner Loop Header: Depth=2
	s_wait_alu 0xfffe
	s_add_nc_u64 s[16:17], s[8:9], s[14:15]
	s_add_nc_u64 s[14:15], s[14:15], 1
	global_load_u8 v6, v7, s[16:17]
	s_wait_alu 0xfffe
	s_cmp_lg_u32 s12, s14
	s_wait_loadcnt 0x0
	v_and_b32_e32 v6, 0xffff, v6
	s_delay_alu instid0(VALU_DEP_1) | instskip(SKIP_1) | instid1(VALU_DEP_1)
	v_lshlrev_b64_e32 v[10:11], s2, v[6:7]
	s_add_nc_u64 s[2:3], s[2:3], 8
	v_or_b32_e32 v4, v10, v4
	s_delay_alu instid0(VALU_DEP_2)
	v_or_b32_e32 v5, v11, v5
	s_cbranch_scc1 .LBB3_247
.LBB3_248:                              ;   in Loop: Header=BB3_244 Depth=1
	s_mov_b64 s[14:15], s[8:9]
	s_mov_b32 s18, 0
	s_cbranch_execz .LBB3_250
	s_branch .LBB3_251
.LBB3_249:                              ;   in Loop: Header=BB3_244 Depth=1
	s_add_nc_u64 s[14:15], s[8:9], 8
	s_mov_b32 s18, 0
.LBB3_250:                              ;   in Loop: Header=BB3_244 Depth=1
	global_load_b64 v[4:5], v7, s[8:9]
	s_add_co_i32 s18, s12, -8
.LBB3_251:                              ;   in Loop: Header=BB3_244 Depth=1
	s_wait_alu 0xfffe
	s_cmp_gt_u32 s18, 7
	s_cbranch_scc1 .LBB3_256
; %bb.252:                              ;   in Loop: Header=BB3_244 Depth=1
	v_mov_b32_e32 v10, 0
	v_mov_b32_e32 v11, 0
	s_cmp_eq_u32 s18, 0
	s_cbranch_scc1 .LBB3_255
; %bb.253:                              ;   in Loop: Header=BB3_244 Depth=1
	s_mov_b64 s[2:3], 0
	s_mov_b64 s[16:17], 0
.LBB3_254:                              ;   Parent Loop BB3_244 Depth=1
                                        ; =>  This Inner Loop Header: Depth=2
	s_wait_alu 0xfffe
	s_add_nc_u64 s[24:25], s[14:15], s[16:17]
	s_add_nc_u64 s[16:17], s[16:17], 1
	global_load_u8 v6, v7, s[24:25]
	s_wait_alu 0xfffe
	s_cmp_lg_u32 s18, s16
	s_wait_loadcnt 0x0
	v_and_b32_e32 v6, 0xffff, v6
	s_delay_alu instid0(VALU_DEP_1) | instskip(SKIP_1) | instid1(VALU_DEP_1)
	v_lshlrev_b64_e32 v[12:13], s2, v[6:7]
	s_add_nc_u64 s[2:3], s[2:3], 8
	v_or_b32_e32 v10, v12, v10
	s_delay_alu instid0(VALU_DEP_2)
	v_or_b32_e32 v11, v13, v11
	s_cbranch_scc1 .LBB3_254
.LBB3_255:                              ;   in Loop: Header=BB3_244 Depth=1
	s_mov_b64 s[2:3], s[14:15]
	s_mov_b32 s19, 0
	s_cbranch_execz .LBB3_257
	s_branch .LBB3_258
.LBB3_256:                              ;   in Loop: Header=BB3_244 Depth=1
	s_add_nc_u64 s[2:3], s[14:15], 8
                                        ; implicit-def: $vgpr10_vgpr11
	s_mov_b32 s19, 0
.LBB3_257:                              ;   in Loop: Header=BB3_244 Depth=1
	global_load_b64 v[10:11], v7, s[14:15]
	s_add_co_i32 s19, s18, -8
.LBB3_258:                              ;   in Loop: Header=BB3_244 Depth=1
	s_wait_alu 0xfffe
	s_cmp_gt_u32 s19, 7
	s_cbranch_scc1 .LBB3_263
; %bb.259:                              ;   in Loop: Header=BB3_244 Depth=1
	v_mov_b32_e32 v12, 0
	v_mov_b32_e32 v13, 0
	s_cmp_eq_u32 s19, 0
	s_cbranch_scc1 .LBB3_262
; %bb.260:                              ;   in Loop: Header=BB3_244 Depth=1
	s_mov_b64 s[14:15], 0
	s_mov_b64 s[16:17], 0
.LBB3_261:                              ;   Parent Loop BB3_244 Depth=1
                                        ; =>  This Inner Loop Header: Depth=2
	s_wait_alu 0xfffe
	s_add_nc_u64 s[24:25], s[2:3], s[16:17]
	s_add_nc_u64 s[16:17], s[16:17], 1
	global_load_u8 v6, v7, s[24:25]
	s_wait_alu 0xfffe
	s_cmp_lg_u32 s19, s16
	s_wait_loadcnt 0x0
	v_and_b32_e32 v6, 0xffff, v6
	s_delay_alu instid0(VALU_DEP_1) | instskip(SKIP_1) | instid1(VALU_DEP_1)
	v_lshlrev_b64_e32 v[14:15], s14, v[6:7]
	s_add_nc_u64 s[14:15], s[14:15], 8
	v_or_b32_e32 v12, v14, v12
	s_delay_alu instid0(VALU_DEP_2)
	v_or_b32_e32 v13, v15, v13
	s_cbranch_scc1 .LBB3_261
.LBB3_262:                              ;   in Loop: Header=BB3_244 Depth=1
	s_mov_b64 s[14:15], s[2:3]
	s_mov_b32 s18, 0
	s_cbranch_execz .LBB3_264
	s_branch .LBB3_265
.LBB3_263:                              ;   in Loop: Header=BB3_244 Depth=1
	s_add_nc_u64 s[14:15], s[2:3], 8
	s_mov_b32 s18, 0
.LBB3_264:                              ;   in Loop: Header=BB3_244 Depth=1
	global_load_b64 v[12:13], v7, s[2:3]
	s_add_co_i32 s18, s19, -8
.LBB3_265:                              ;   in Loop: Header=BB3_244 Depth=1
	s_wait_alu 0xfffe
	s_cmp_gt_u32 s18, 7
	s_cbranch_scc1 .LBB3_270
; %bb.266:                              ;   in Loop: Header=BB3_244 Depth=1
	v_mov_b32_e32 v14, 0
	v_mov_b32_e32 v15, 0
	s_cmp_eq_u32 s18, 0
	s_cbranch_scc1 .LBB3_269
; %bb.267:                              ;   in Loop: Header=BB3_244 Depth=1
	s_mov_b64 s[2:3], 0
	s_mov_b64 s[16:17], 0
.LBB3_268:                              ;   Parent Loop BB3_244 Depth=1
                                        ; =>  This Inner Loop Header: Depth=2
	s_wait_alu 0xfffe
	s_add_nc_u64 s[24:25], s[14:15], s[16:17]
	s_add_nc_u64 s[16:17], s[16:17], 1
	global_load_u8 v6, v7, s[24:25]
	s_wait_alu 0xfffe
	s_cmp_lg_u32 s18, s16
	s_wait_loadcnt 0x0
	v_and_b32_e32 v6, 0xffff, v6
	s_delay_alu instid0(VALU_DEP_1) | instskip(SKIP_1) | instid1(VALU_DEP_1)
	v_lshlrev_b64_e32 v[16:17], s2, v[6:7]
	s_add_nc_u64 s[2:3], s[2:3], 8
	v_or_b32_e32 v14, v16, v14
	s_delay_alu instid0(VALU_DEP_2)
	v_or_b32_e32 v15, v17, v15
	s_cbranch_scc1 .LBB3_268
.LBB3_269:                              ;   in Loop: Header=BB3_244 Depth=1
	s_mov_b64 s[2:3], s[14:15]
	s_mov_b32 s19, 0
	s_cbranch_execz .LBB3_271
	s_branch .LBB3_272
.LBB3_270:                              ;   in Loop: Header=BB3_244 Depth=1
	s_add_nc_u64 s[2:3], s[14:15], 8
                                        ; implicit-def: $vgpr14_vgpr15
	s_mov_b32 s19, 0
.LBB3_271:                              ;   in Loop: Header=BB3_244 Depth=1
	global_load_b64 v[14:15], v7, s[14:15]
	s_add_co_i32 s19, s18, -8
.LBB3_272:                              ;   in Loop: Header=BB3_244 Depth=1
	s_wait_alu 0xfffe
	s_cmp_gt_u32 s19, 7
	s_cbranch_scc1 .LBB3_277
; %bb.273:                              ;   in Loop: Header=BB3_244 Depth=1
	v_mov_b32_e32 v16, 0
	v_mov_b32_e32 v17, 0
	s_cmp_eq_u32 s19, 0
	s_cbranch_scc1 .LBB3_276
; %bb.274:                              ;   in Loop: Header=BB3_244 Depth=1
	s_mov_b64 s[14:15], 0
	s_mov_b64 s[16:17], 0
.LBB3_275:                              ;   Parent Loop BB3_244 Depth=1
                                        ; =>  This Inner Loop Header: Depth=2
	s_wait_alu 0xfffe
	s_add_nc_u64 s[24:25], s[2:3], s[16:17]
	s_add_nc_u64 s[16:17], s[16:17], 1
	global_load_u8 v6, v7, s[24:25]
	s_wait_alu 0xfffe
	s_cmp_lg_u32 s19, s16
	s_wait_loadcnt 0x0
	v_and_b32_e32 v6, 0xffff, v6
	s_delay_alu instid0(VALU_DEP_1) | instskip(SKIP_1) | instid1(VALU_DEP_1)
	v_lshlrev_b64_e32 v[18:19], s14, v[6:7]
	s_add_nc_u64 s[14:15], s[14:15], 8
	v_or_b32_e32 v16, v18, v16
	s_delay_alu instid0(VALU_DEP_2)
	v_or_b32_e32 v17, v19, v17
	s_cbranch_scc1 .LBB3_275
.LBB3_276:                              ;   in Loop: Header=BB3_244 Depth=1
	s_mov_b64 s[14:15], s[2:3]
	s_mov_b32 s18, 0
	s_cbranch_execz .LBB3_278
	s_branch .LBB3_279
.LBB3_277:                              ;   in Loop: Header=BB3_244 Depth=1
	s_add_nc_u64 s[14:15], s[2:3], 8
	s_mov_b32 s18, 0
.LBB3_278:                              ;   in Loop: Header=BB3_244 Depth=1
	global_load_b64 v[16:17], v7, s[2:3]
	s_add_co_i32 s18, s19, -8
.LBB3_279:                              ;   in Loop: Header=BB3_244 Depth=1
	s_wait_alu 0xfffe
	s_cmp_gt_u32 s18, 7
	s_cbranch_scc1 .LBB3_284
; %bb.280:                              ;   in Loop: Header=BB3_244 Depth=1
	v_mov_b32_e32 v18, 0
	v_mov_b32_e32 v19, 0
	s_cmp_eq_u32 s18, 0
	s_cbranch_scc1 .LBB3_283
; %bb.281:                              ;   in Loop: Header=BB3_244 Depth=1
	s_mov_b64 s[2:3], 0
	s_mov_b64 s[16:17], 0
.LBB3_282:                              ;   Parent Loop BB3_244 Depth=1
                                        ; =>  This Inner Loop Header: Depth=2
	s_wait_alu 0xfffe
	s_add_nc_u64 s[24:25], s[14:15], s[16:17]
	s_add_nc_u64 s[16:17], s[16:17], 1
	global_load_u8 v6, v7, s[24:25]
	s_wait_alu 0xfffe
	s_cmp_lg_u32 s18, s16
	s_wait_loadcnt 0x0
	v_and_b32_e32 v6, 0xffff, v6
	s_delay_alu instid0(VALU_DEP_1) | instskip(SKIP_1) | instid1(VALU_DEP_1)
	v_lshlrev_b64_e32 v[20:21], s2, v[6:7]
	s_add_nc_u64 s[2:3], s[2:3], 8
	v_or_b32_e32 v18, v20, v18
	s_delay_alu instid0(VALU_DEP_2)
	v_or_b32_e32 v19, v21, v19
	s_cbranch_scc1 .LBB3_282
.LBB3_283:                              ;   in Loop: Header=BB3_244 Depth=1
	s_mov_b64 s[2:3], s[14:15]
	s_mov_b32 s19, 0
	s_cbranch_execz .LBB3_285
	s_branch .LBB3_286
.LBB3_284:                              ;   in Loop: Header=BB3_244 Depth=1
	s_add_nc_u64 s[2:3], s[14:15], 8
                                        ; implicit-def: $vgpr18_vgpr19
	s_mov_b32 s19, 0
.LBB3_285:                              ;   in Loop: Header=BB3_244 Depth=1
	global_load_b64 v[18:19], v7, s[14:15]
	s_add_co_i32 s19, s18, -8
.LBB3_286:                              ;   in Loop: Header=BB3_244 Depth=1
	s_wait_alu 0xfffe
	s_cmp_gt_u32 s19, 7
	s_cbranch_scc1 .LBB3_291
; %bb.287:                              ;   in Loop: Header=BB3_244 Depth=1
	v_mov_b32_e32 v20, 0
	v_mov_b32_e32 v21, 0
	s_cmp_eq_u32 s19, 0
	s_cbranch_scc1 .LBB3_290
; %bb.288:                              ;   in Loop: Header=BB3_244 Depth=1
	s_mov_b64 s[14:15], 0
	s_mov_b64 s[16:17], s[2:3]
.LBB3_289:                              ;   Parent Loop BB3_244 Depth=1
                                        ; =>  This Inner Loop Header: Depth=2
	global_load_u8 v6, v7, s[16:17]
	s_add_co_i32 s19, s19, -1
	s_wait_alu 0xfffe
	s_add_nc_u64 s[16:17], s[16:17], 1
	s_cmp_lg_u32 s19, 0
	s_wait_loadcnt 0x0
	v_and_b32_e32 v6, 0xffff, v6
	s_delay_alu instid0(VALU_DEP_1) | instskip(SKIP_1) | instid1(VALU_DEP_1)
	v_lshlrev_b64_e32 v[22:23], s14, v[6:7]
	s_add_nc_u64 s[14:15], s[14:15], 8
	v_or_b32_e32 v20, v22, v20
	s_delay_alu instid0(VALU_DEP_2)
	v_or_b32_e32 v21, v23, v21
	s_cbranch_scc1 .LBB3_289
.LBB3_290:                              ;   in Loop: Header=BB3_244 Depth=1
	s_cbranch_execz .LBB3_292
	s_branch .LBB3_293
.LBB3_291:                              ;   in Loop: Header=BB3_244 Depth=1
.LBB3_292:                              ;   in Loop: Header=BB3_244 Depth=1
	global_load_b64 v[20:21], v7, s[2:3]
.LBB3_293:                              ;   in Loop: Header=BB3_244 Depth=1
	v_readfirstlane_b32 s2, v33
	v_mov_b32_e32 v27, 0
	v_mov_b32_e32 v28, 0
	s_wait_alu 0xf1ff
	s_delay_alu instid0(VALU_DEP_3)
	v_cmp_eq_u32_e64 s2, s2, v33
	s_and_saveexec_b32 s3, s2
	s_cbranch_execz .LBB3_299
; %bb.294:                              ;   in Loop: Header=BB3_244 Depth=1
	global_load_b64 v[24:25], v7, s[6:7] offset:24 scope:SCOPE_SYS
	s_wait_loadcnt 0x0
	global_inv scope:SCOPE_SYS
	s_clause 0x1
	global_load_b64 v[22:23], v7, s[6:7] offset:40
	global_load_b64 v[27:28], v7, s[6:7]
	s_mov_b32 s14, exec_lo
	s_wait_loadcnt 0x1
	v_and_b32_e32 v6, v23, v25
	v_and_b32_e32 v22, v22, v24
	s_delay_alu instid0(VALU_DEP_2) | instskip(NEXT) | instid1(VALU_DEP_2)
	v_mul_lo_u32 v6, 24, v6
	v_mul_lo_u32 v23, 0, v22
	v_mul_hi_u32 v29, 24, v22
	v_mul_lo_u32 v22, 24, v22
	s_delay_alu instid0(VALU_DEP_3) | instskip(SKIP_1) | instid1(VALU_DEP_2)
	v_add_nc_u32_e32 v6, v6, v23
	s_wait_loadcnt 0x0
	v_add_co_u32 v22, vcc_lo, v27, v22
	s_delay_alu instid0(VALU_DEP_2) | instskip(SKIP_1) | instid1(VALU_DEP_1)
	v_add_nc_u32_e32 v6, v6, v29
	s_wait_alu 0xfffd
	v_add_co_ci_u32_e64 v23, null, v28, v6, vcc_lo
	global_load_b64 v[22:23], v[22:23], off scope:SCOPE_SYS
	s_wait_loadcnt 0x0
	global_atomic_cmpswap_b64 v[27:28], v7, v[22:25], s[6:7] offset:24 th:TH_ATOMIC_RETURN scope:SCOPE_SYS
	s_wait_loadcnt 0x0
	global_inv scope:SCOPE_SYS
	v_cmpx_ne_u64_e64 v[27:28], v[24:25]
	s_cbranch_execz .LBB3_298
; %bb.295:                              ;   in Loop: Header=BB3_244 Depth=1
	s_mov_b32 s15, 0
.LBB3_296:                              ;   Parent Loop BB3_244 Depth=1
                                        ; =>  This Inner Loop Header: Depth=2
	s_sleep 1
	s_clause 0x1
	global_load_b64 v[22:23], v7, s[6:7] offset:40
	global_load_b64 v[29:30], v7, s[6:7]
	v_dual_mov_b32 v24, v27 :: v_dual_mov_b32 v25, v28
	s_wait_loadcnt 0x1
	s_delay_alu instid0(VALU_DEP_1) | instskip(NEXT) | instid1(VALU_DEP_2)
	v_and_b32_e32 v6, v22, v24
	v_and_b32_e32 v22, v23, v25
	s_wait_loadcnt 0x0
	s_delay_alu instid0(VALU_DEP_2) | instskip(NEXT) | instid1(VALU_DEP_1)
	v_mad_co_u64_u32 v[27:28], null, v6, 24, v[29:30]
	v_mov_b32_e32 v6, v28
	s_delay_alu instid0(VALU_DEP_1) | instskip(NEXT) | instid1(VALU_DEP_1)
	v_mad_co_u64_u32 v[22:23], null, v22, 24, v[6:7]
	v_mov_b32_e32 v28, v22
	global_load_b64 v[22:23], v[27:28], off scope:SCOPE_SYS
	s_wait_loadcnt 0x0
	global_atomic_cmpswap_b64 v[27:28], v7, v[22:25], s[6:7] offset:24 th:TH_ATOMIC_RETURN scope:SCOPE_SYS
	s_wait_loadcnt 0x0
	global_inv scope:SCOPE_SYS
	v_cmp_eq_u64_e32 vcc_lo, v[27:28], v[24:25]
	s_wait_alu 0xfffe
	s_or_b32 s15, vcc_lo, s15
	s_wait_alu 0xfffe
	s_and_not1_b32 exec_lo, exec_lo, s15
	s_cbranch_execnz .LBB3_296
; %bb.297:                              ;   in Loop: Header=BB3_244 Depth=1
	s_or_b32 exec_lo, exec_lo, s15
.LBB3_298:                              ;   in Loop: Header=BB3_244 Depth=1
	s_wait_alu 0xfffe
	s_or_b32 exec_lo, exec_lo, s14
.LBB3_299:                              ;   in Loop: Header=BB3_244 Depth=1
	s_wait_alu 0xfffe
	s_or_b32 exec_lo, exec_lo, s3
	s_clause 0x1
	global_load_b64 v[29:30], v7, s[6:7] offset:40
	global_load_b128 v[22:25], v7, s[6:7]
	v_readfirstlane_b32 s15, v28
	v_readfirstlane_b32 s14, v27
	s_mov_b32 s3, exec_lo
	s_wait_loadcnt 0x1
	s_wait_alu 0xf1ff
	v_and_b32_e32 v30, s15, v30
	v_and_b32_e32 v29, s14, v29
	s_delay_alu instid0(VALU_DEP_2) | instskip(NEXT) | instid1(VALU_DEP_2)
	v_mul_lo_u32 v6, 24, v30
	v_mul_lo_u32 v27, 0, v29
	v_mul_hi_u32 v28, 24, v29
	v_mul_lo_u32 v35, 24, v29
	s_delay_alu instid0(VALU_DEP_3) | instskip(SKIP_1) | instid1(VALU_DEP_2)
	v_add_nc_u32_e32 v6, v6, v27
	s_wait_loadcnt 0x0
	v_add_co_u32 v27, vcc_lo, v22, v35
	s_delay_alu instid0(VALU_DEP_2) | instskip(SKIP_1) | instid1(VALU_DEP_1)
	v_add_nc_u32_e32 v6, v6, v28
	s_wait_alu 0xfffd
	v_add_co_ci_u32_e64 v28, null, v23, v6, vcc_lo
	s_and_saveexec_b32 s16, s2
	s_cbranch_execz .LBB3_301
; %bb.300:                              ;   in Loop: Header=BB3_244 Depth=1
	s_wait_alu 0xfffe
	v_mov_b32_e32 v6, s3
	global_store_b128 v[27:28], v[6:9], off offset:8
.LBB3_301:                              ;   in Loop: Header=BB3_244 Depth=1
	s_wait_alu 0xfffe
	s_or_b32 exec_lo, exec_lo, s16
	v_cmp_lt_u64_e64 vcc_lo, s[10:11], 57
	v_lshlrev_b64_e32 v[29:30], 12, v[29:30]
	v_and_b32_e32 v2, 0xffffff1f, v2
	s_lshl_b32 s3, s12, 2
	s_wait_alu 0xfffe
	s_add_co_i32 s3, s3, 28
	s_wait_alu 0xfffd
	v_cndmask_b32_e32 v6, 0, v34, vcc_lo
	v_add_co_u32 v24, vcc_lo, v24, v29
	s_wait_alu 0xfffd
	v_add_co_ci_u32_e64 v25, null, v25, v30, vcc_lo
	s_delay_alu instid0(VALU_DEP_3) | instskip(NEXT) | instid1(VALU_DEP_3)
	v_or_b32_e32 v2, v2, v6
	v_readfirstlane_b32 s16, v24
	s_delay_alu instid0(VALU_DEP_3) | instskip(SKIP_1) | instid1(VALU_DEP_3)
	v_readfirstlane_b32 s17, v25
	s_wait_alu 0xfffe
	v_and_or_b32 v2, 0x1e0, s3, v2
	s_clause 0x3
	global_store_b128 v32, v[2:5], s[16:17]
	global_store_b128 v32, v[10:13], s[16:17] offset:16
	global_store_b128 v32, v[14:17], s[16:17] offset:32
	global_store_b128 v32, v[18:21], s[16:17] offset:48
	s_and_saveexec_b32 s3, s2
	s_cbranch_execz .LBB3_309
; %bb.302:                              ;   in Loop: Header=BB3_244 Depth=1
	s_clause 0x1
	global_load_b64 v[14:15], v7, s[6:7] offset:32 scope:SCOPE_SYS
	global_load_b64 v[2:3], v7, s[6:7] offset:40
	s_mov_b32 s16, exec_lo
	v_dual_mov_b32 v12, s14 :: v_dual_mov_b32 v13, s15
	s_wait_loadcnt 0x0
	v_and_b32_e32 v2, s14, v2
	v_and_b32_e32 v3, s15, v3
	s_delay_alu instid0(VALU_DEP_2) | instskip(NEXT) | instid1(VALU_DEP_2)
	v_mul_lo_u32 v4, 0, v2
	v_mul_lo_u32 v3, 24, v3
	v_mul_hi_u32 v5, 24, v2
	v_mul_lo_u32 v2, 24, v2
	s_delay_alu instid0(VALU_DEP_3) | instskip(NEXT) | instid1(VALU_DEP_2)
	v_add_nc_u32_e32 v3, v3, v4
	v_add_co_u32 v10, vcc_lo, v22, v2
	s_delay_alu instid0(VALU_DEP_2) | instskip(SKIP_1) | instid1(VALU_DEP_1)
	v_add_nc_u32_e32 v3, v3, v5
	s_wait_alu 0xfffd
	v_add_co_ci_u32_e64 v11, null, v23, v3, vcc_lo
	global_store_b64 v[10:11], v[14:15], off
	global_wb scope:SCOPE_SYS
	s_wait_storecnt 0x0
	global_atomic_cmpswap_b64 v[4:5], v7, v[12:15], s[6:7] offset:32 th:TH_ATOMIC_RETURN scope:SCOPE_SYS
	s_wait_loadcnt 0x0
	v_cmpx_ne_u64_e64 v[4:5], v[14:15]
	s_cbranch_execz .LBB3_305
; %bb.303:                              ;   in Loop: Header=BB3_244 Depth=1
	s_mov_b32 s17, 0
.LBB3_304:                              ;   Parent Loop BB3_244 Depth=1
                                        ; =>  This Inner Loop Header: Depth=2
	v_dual_mov_b32 v2, s14 :: v_dual_mov_b32 v3, s15
	s_sleep 1
	global_store_b64 v[10:11], v[4:5], off
	global_wb scope:SCOPE_SYS
	s_wait_storecnt 0x0
	global_atomic_cmpswap_b64 v[2:3], v7, v[2:5], s[6:7] offset:32 th:TH_ATOMIC_RETURN scope:SCOPE_SYS
	s_wait_loadcnt 0x0
	v_cmp_eq_u64_e32 vcc_lo, v[2:3], v[4:5]
	v_dual_mov_b32 v5, v3 :: v_dual_mov_b32 v4, v2
	s_wait_alu 0xfffe
	s_or_b32 s17, vcc_lo, s17
	s_wait_alu 0xfffe
	s_and_not1_b32 exec_lo, exec_lo, s17
	s_cbranch_execnz .LBB3_304
.LBB3_305:                              ;   in Loop: Header=BB3_244 Depth=1
	s_wait_alu 0xfffe
	s_or_b32 exec_lo, exec_lo, s16
	global_load_b64 v[2:3], v7, s[6:7] offset:16
	s_mov_b32 s17, exec_lo
	s_mov_b32 s16, exec_lo
	s_wait_alu 0xfffe
	v_mbcnt_lo_u32_b32 v4, s17, 0
	s_delay_alu instid0(VALU_DEP_1)
	v_cmpx_eq_u32_e32 0, v4
	s_cbranch_execz .LBB3_307
; %bb.306:                              ;   in Loop: Header=BB3_244 Depth=1
	s_bcnt1_i32_b32 s17, s17
	s_wait_alu 0xfffe
	v_mov_b32_e32 v6, s17
	global_wb scope:SCOPE_SYS
	s_wait_loadcnt 0x0
	s_wait_storecnt 0x0
	global_atomic_add_u64 v[2:3], v[6:7], off offset:8 scope:SCOPE_SYS
.LBB3_307:                              ;   in Loop: Header=BB3_244 Depth=1
	s_or_b32 exec_lo, exec_lo, s16
	s_wait_loadcnt 0x0
	global_load_b64 v[4:5], v[2:3], off offset:16
	s_wait_loadcnt 0x0
	v_cmp_eq_u64_e32 vcc_lo, 0, v[4:5]
	s_cbranch_vccnz .LBB3_309
; %bb.308:                              ;   in Loop: Header=BB3_244 Depth=1
	global_load_b32 v6, v[2:3], off offset:24
	s_wait_loadcnt 0x0
	v_readfirstlane_b32 s16, v6
	global_wb scope:SCOPE_SYS
	s_wait_storecnt 0x0
	global_store_b64 v[4:5], v[6:7], off scope:SCOPE_SYS
	s_and_b32 m0, s16, 0xffffff
	s_sendmsg sendmsg(MSG_INTERRUPT)
.LBB3_309:                              ;   in Loop: Header=BB3_244 Depth=1
	s_wait_alu 0xfffe
	s_or_b32 exec_lo, exec_lo, s3
	v_add_co_u32 v2, vcc_lo, v24, v32
	s_wait_alu 0xfffd
	v_add_co_ci_u32_e64 v3, null, 0, v25, vcc_lo
	s_branch .LBB3_313
.LBB3_310:                              ;   in Loop: Header=BB3_313 Depth=2
	s_wait_alu 0xfffe
	s_or_b32 exec_lo, exec_lo, s3
	s_delay_alu instid0(VALU_DEP_1)
	v_readfirstlane_b32 s3, v4
	s_cmp_eq_u32 s3, 0
	s_cbranch_scc1 .LBB3_312
; %bb.311:                              ;   in Loop: Header=BB3_313 Depth=2
	s_sleep 1
	s_cbranch_execnz .LBB3_313
	s_branch .LBB3_315
.LBB3_312:                              ;   in Loop: Header=BB3_244 Depth=1
	s_branch .LBB3_315
.LBB3_313:                              ;   Parent Loop BB3_244 Depth=1
                                        ; =>  This Inner Loop Header: Depth=2
	v_mov_b32_e32 v4, 1
	s_and_saveexec_b32 s3, s2
	s_cbranch_execz .LBB3_310
; %bb.314:                              ;   in Loop: Header=BB3_313 Depth=2
	global_load_b32 v4, v[27:28], off offset:20 scope:SCOPE_SYS
	s_wait_loadcnt 0x0
	global_inv scope:SCOPE_SYS
	v_and_b32_e32 v4, 1, v4
	s_branch .LBB3_310
.LBB3_315:                              ;   in Loop: Header=BB3_244 Depth=1
	global_load_b64 v[2:3], v[2:3], off
	s_and_saveexec_b32 s16, s2
	s_cbranch_execz .LBB3_243
; %bb.316:                              ;   in Loop: Header=BB3_244 Depth=1
	s_clause 0x2
	global_load_b64 v[4:5], v7, s[6:7] offset:40
	global_load_b64 v[14:15], v7, s[6:7] offset:24 scope:SCOPE_SYS
	global_load_b64 v[10:11], v7, s[6:7]
	s_wait_loadcnt 0x2
	v_readfirstlane_b32 s18, v4
	v_readfirstlane_b32 s19, v5
	s_add_nc_u64 s[2:3], s[18:19], 1
	s_wait_alu 0xfffe
	s_add_nc_u64 s[14:15], s[2:3], s[14:15]
	s_wait_alu 0xfffe
	s_cmp_eq_u64 s[14:15], 0
	s_cselect_b32 s3, s3, s15
	s_cselect_b32 s2, s2, s14
	s_wait_alu 0xfffe
	v_dual_mov_b32 v13, s3 :: v_dual_mov_b32 v12, s2
	s_and_b64 s[14:15], s[2:3], s[18:19]
	s_wait_alu 0xfffe
	s_mul_u64 s[14:15], s[14:15], 24
	s_wait_loadcnt 0x0
	s_wait_alu 0xfffe
	v_add_co_u32 v4, vcc_lo, v10, s14
	s_wait_alu 0xfffd
	v_add_co_ci_u32_e64 v5, null, s15, v11, vcc_lo
	global_store_b64 v[4:5], v[14:15], off
	global_wb scope:SCOPE_SYS
	s_wait_storecnt 0x0
	global_atomic_cmpswap_b64 v[12:13], v7, v[12:15], s[6:7] offset:24 th:TH_ATOMIC_RETURN scope:SCOPE_SYS
	s_wait_loadcnt 0x0
	v_cmp_ne_u64_e32 vcc_lo, v[12:13], v[14:15]
	s_and_b32 exec_lo, exec_lo, vcc_lo
	s_cbranch_execz .LBB3_243
; %bb.317:                              ;   in Loop: Header=BB3_244 Depth=1
	s_mov_b32 s14, 0
.LBB3_318:                              ;   Parent Loop BB3_244 Depth=1
                                        ; =>  This Inner Loop Header: Depth=2
	v_dual_mov_b32 v10, s2 :: v_dual_mov_b32 v11, s3
	s_sleep 1
	global_store_b64 v[4:5], v[12:13], off
	global_wb scope:SCOPE_SYS
	s_wait_storecnt 0x0
	global_atomic_cmpswap_b64 v[10:11], v7, v[10:13], s[6:7] offset:24 th:TH_ATOMIC_RETURN scope:SCOPE_SYS
	s_wait_loadcnt 0x0
	v_cmp_eq_u64_e32 vcc_lo, v[10:11], v[12:13]
	v_dual_mov_b32 v13, v11 :: v_dual_mov_b32 v12, v10
	s_wait_alu 0xfffe
	s_or_b32 s14, vcc_lo, s14
	s_wait_alu 0xfffe
	s_and_not1_b32 exec_lo, exec_lo, s14
	s_cbranch_execnz .LBB3_318
	s_branch .LBB3_243
.LBB3_319:
	s_branch .LBB3_348
.LBB3_320:
                                        ; implicit-def: $vgpr2_vgpr3
	s_cbranch_execz .LBB3_348
; %bb.321:
	v_readfirstlane_b32 s2, v33
	v_mov_b32_e32 v8, 0
	v_mov_b32_e32 v9, 0
	s_wait_alu 0xf1ff
	s_delay_alu instid0(VALU_DEP_3)
	v_cmp_eq_u32_e64 s2, s2, v33
	s_and_saveexec_b32 s3, s2
	s_cbranch_execz .LBB3_327
; %bb.322:
	s_wait_loadcnt 0x0
	v_mov_b32_e32 v2, 0
	s_mov_b32 s8, exec_lo
	global_load_b64 v[5:6], v2, s[6:7] offset:24 scope:SCOPE_SYS
	s_wait_loadcnt 0x0
	global_inv scope:SCOPE_SYS
	s_clause 0x1
	global_load_b64 v[3:4], v2, s[6:7] offset:40
	global_load_b64 v[7:8], v2, s[6:7]
	s_wait_loadcnt 0x1
	v_and_b32_e32 v4, v4, v6
	v_and_b32_e32 v3, v3, v5
	s_delay_alu instid0(VALU_DEP_2) | instskip(NEXT) | instid1(VALU_DEP_2)
	v_mul_lo_u32 v4, 24, v4
	v_mul_lo_u32 v9, 0, v3
	v_mul_hi_u32 v10, 24, v3
	v_mul_lo_u32 v3, 24, v3
	s_delay_alu instid0(VALU_DEP_3) | instskip(SKIP_1) | instid1(VALU_DEP_2)
	v_add_nc_u32_e32 v4, v4, v9
	s_wait_loadcnt 0x0
	v_add_co_u32 v3, vcc_lo, v7, v3
	s_delay_alu instid0(VALU_DEP_2) | instskip(SKIP_1) | instid1(VALU_DEP_1)
	v_add_nc_u32_e32 v4, v4, v10
	s_wait_alu 0xfffd
	v_add_co_ci_u32_e64 v4, null, v8, v4, vcc_lo
	global_load_b64 v[3:4], v[3:4], off scope:SCOPE_SYS
	s_wait_loadcnt 0x0
	global_atomic_cmpswap_b64 v[8:9], v2, v[3:6], s[6:7] offset:24 th:TH_ATOMIC_RETURN scope:SCOPE_SYS
	s_wait_loadcnt 0x0
	global_inv scope:SCOPE_SYS
	v_cmpx_ne_u64_e64 v[8:9], v[5:6]
	s_cbranch_execz .LBB3_326
; %bb.323:
	s_mov_b32 s9, 0
.LBB3_324:                              ; =>This Inner Loop Header: Depth=1
	s_sleep 1
	s_clause 0x1
	global_load_b64 v[3:4], v2, s[6:7] offset:40
	global_load_b64 v[10:11], v2, s[6:7]
	v_dual_mov_b32 v5, v8 :: v_dual_mov_b32 v6, v9
	s_wait_loadcnt 0x1
	s_delay_alu instid0(VALU_DEP_1) | instskip(NEXT) | instid1(VALU_DEP_2)
	v_and_b32_e32 v3, v3, v5
	v_and_b32_e32 v4, v4, v6
	s_wait_loadcnt 0x0
	s_delay_alu instid0(VALU_DEP_2) | instskip(NEXT) | instid1(VALU_DEP_1)
	v_mad_co_u64_u32 v[7:8], null, v3, 24, v[10:11]
	v_mov_b32_e32 v3, v8
	s_delay_alu instid0(VALU_DEP_1) | instskip(NEXT) | instid1(VALU_DEP_1)
	v_mad_co_u64_u32 v[3:4], null, v4, 24, v[3:4]
	v_mov_b32_e32 v8, v3
	global_load_b64 v[3:4], v[7:8], off scope:SCOPE_SYS
	s_wait_loadcnt 0x0
	global_atomic_cmpswap_b64 v[8:9], v2, v[3:6], s[6:7] offset:24 th:TH_ATOMIC_RETURN scope:SCOPE_SYS
	s_wait_loadcnt 0x0
	global_inv scope:SCOPE_SYS
	v_cmp_eq_u64_e32 vcc_lo, v[8:9], v[5:6]
	s_wait_alu 0xfffe
	s_or_b32 s9, vcc_lo, s9
	s_wait_alu 0xfffe
	s_and_not1_b32 exec_lo, exec_lo, s9
	s_cbranch_execnz .LBB3_324
; %bb.325:
	s_or_b32 exec_lo, exec_lo, s9
.LBB3_326:
	s_wait_alu 0xfffe
	s_or_b32 exec_lo, exec_lo, s8
.LBB3_327:
	s_wait_alu 0xfffe
	s_or_b32 exec_lo, exec_lo, s3
	v_readfirstlane_b32 s9, v9
	s_wait_loadcnt 0x0
	v_mov_b32_e32 v2, 0
	v_readfirstlane_b32 s8, v8
	s_mov_b32 s3, exec_lo
	s_clause 0x1
	global_load_b64 v[10:11], v2, s[6:7] offset:40
	global_load_b128 v[4:7], v2, s[6:7]
	s_wait_loadcnt 0x1
	s_wait_alu 0xf1ff
	v_and_b32_e32 v11, s9, v11
	v_and_b32_e32 v10, s8, v10
	s_delay_alu instid0(VALU_DEP_2) | instskip(NEXT) | instid1(VALU_DEP_2)
	v_mul_lo_u32 v3, 24, v11
	v_mul_lo_u32 v8, 0, v10
	v_mul_hi_u32 v9, 24, v10
	v_mul_lo_u32 v12, 24, v10
	s_delay_alu instid0(VALU_DEP_3) | instskip(SKIP_1) | instid1(VALU_DEP_2)
	v_add_nc_u32_e32 v3, v3, v8
	s_wait_loadcnt 0x0
	v_add_co_u32 v8, vcc_lo, v4, v12
	s_delay_alu instid0(VALU_DEP_2) | instskip(SKIP_1) | instid1(VALU_DEP_1)
	v_add_nc_u32_e32 v3, v3, v9
	s_wait_alu 0xfffd
	v_add_co_ci_u32_e64 v9, null, v5, v3, vcc_lo
	s_and_saveexec_b32 s10, s2
	s_cbranch_execz .LBB3_329
; %bb.328:
	s_wait_alu 0xfffe
	v_dual_mov_b32 v12, s3 :: v_dual_mov_b32 v13, v2
	v_dual_mov_b32 v14, 2 :: v_dual_mov_b32 v15, 1
	global_store_b128 v[8:9], v[12:15], off offset:8
.LBB3_329:
	s_wait_alu 0xfffe
	s_or_b32 exec_lo, exec_lo, s10
	v_lshlrev_b64_e32 v[10:11], 12, v[10:11]
	s_mov_b32 s12, 0
	v_and_or_b32 v0, 0xffffff1f, v0, 32
	s_wait_alu 0xfffe
	s_mov_b32 s13, s12
	s_mov_b32 s14, s12
	;; [unrolled: 1-line block ×3, first 2 shown]
	v_add_co_u32 v6, vcc_lo, v6, v10
	s_wait_alu 0xfffd
	v_add_co_ci_u32_e64 v7, null, v7, v11, vcc_lo
	v_dual_mov_b32 v3, v2 :: v_dual_mov_b32 v10, s12
	s_delay_alu instid0(VALU_DEP_3) | instskip(SKIP_1) | instid1(VALU_DEP_4)
	v_readfirstlane_b32 s10, v6
	v_add_co_u32 v6, vcc_lo, v6, v32
	v_readfirstlane_b32 s11, v7
	s_wait_alu 0xfffd
	v_add_co_ci_u32_e64 v7, null, 0, v7, vcc_lo
	s_wait_alu 0xfffe
	v_dual_mov_b32 v11, s13 :: v_dual_mov_b32 v12, s14
	v_mov_b32_e32 v13, s15
	s_clause 0x3
	global_store_b128 v32, v[0:3], s[10:11]
	global_store_b128 v32, v[10:13], s[10:11] offset:16
	global_store_b128 v32, v[10:13], s[10:11] offset:32
	;; [unrolled: 1-line block ×3, first 2 shown]
	s_and_saveexec_b32 s3, s2
	s_cbranch_execz .LBB3_337
; %bb.330:
	v_mov_b32_e32 v10, 0
	s_mov_b32 s10, exec_lo
	s_clause 0x1
	global_load_b64 v[13:14], v10, s[6:7] offset:32 scope:SCOPE_SYS
	global_load_b64 v[0:1], v10, s[6:7] offset:40
	v_dual_mov_b32 v11, s8 :: v_dual_mov_b32 v12, s9
	s_wait_loadcnt 0x0
	v_and_b32_e32 v1, s9, v1
	v_and_b32_e32 v0, s8, v0
	s_delay_alu instid0(VALU_DEP_2) | instskip(NEXT) | instid1(VALU_DEP_2)
	v_mul_lo_u32 v1, 24, v1
	v_mul_lo_u32 v2, 0, v0
	v_mul_hi_u32 v3, 24, v0
	v_mul_lo_u32 v0, 24, v0
	s_delay_alu instid0(VALU_DEP_3) | instskip(NEXT) | instid1(VALU_DEP_2)
	v_add_nc_u32_e32 v1, v1, v2
	v_add_co_u32 v4, vcc_lo, v4, v0
	s_delay_alu instid0(VALU_DEP_2) | instskip(SKIP_1) | instid1(VALU_DEP_1)
	v_add_nc_u32_e32 v1, v1, v3
	s_wait_alu 0xfffd
	v_add_co_ci_u32_e64 v5, null, v5, v1, vcc_lo
	global_store_b64 v[4:5], v[13:14], off
	global_wb scope:SCOPE_SYS
	s_wait_storecnt 0x0
	global_atomic_cmpswap_b64 v[2:3], v10, v[11:14], s[6:7] offset:32 th:TH_ATOMIC_RETURN scope:SCOPE_SYS
	s_wait_loadcnt 0x0
	v_cmpx_ne_u64_e64 v[2:3], v[13:14]
	s_cbranch_execz .LBB3_333
; %bb.331:
	s_mov_b32 s11, 0
.LBB3_332:                              ; =>This Inner Loop Header: Depth=1
	v_dual_mov_b32 v0, s8 :: v_dual_mov_b32 v1, s9
	s_sleep 1
	global_store_b64 v[4:5], v[2:3], off
	global_wb scope:SCOPE_SYS
	s_wait_storecnt 0x0
	global_atomic_cmpswap_b64 v[0:1], v10, v[0:3], s[6:7] offset:32 th:TH_ATOMIC_RETURN scope:SCOPE_SYS
	s_wait_loadcnt 0x0
	v_cmp_eq_u64_e32 vcc_lo, v[0:1], v[2:3]
	v_dual_mov_b32 v3, v1 :: v_dual_mov_b32 v2, v0
	s_wait_alu 0xfffe
	s_or_b32 s11, vcc_lo, s11
	s_wait_alu 0xfffe
	s_and_not1_b32 exec_lo, exec_lo, s11
	s_cbranch_execnz .LBB3_332
.LBB3_333:
	s_wait_alu 0xfffe
	s_or_b32 exec_lo, exec_lo, s10
	v_mov_b32_e32 v3, 0
	s_mov_b32 s11, exec_lo
	s_mov_b32 s10, exec_lo
	s_wait_alu 0xfffe
	v_mbcnt_lo_u32_b32 v2, s11, 0
	global_load_b64 v[0:1], v3, s[6:7] offset:16
	v_cmpx_eq_u32_e32 0, v2
	s_cbranch_execz .LBB3_335
; %bb.334:
	s_bcnt1_i32_b32 s11, s11
	s_wait_alu 0xfffe
	v_mov_b32_e32 v2, s11
	global_wb scope:SCOPE_SYS
	s_wait_loadcnt 0x0
	s_wait_storecnt 0x0
	global_atomic_add_u64 v[0:1], v[2:3], off offset:8 scope:SCOPE_SYS
.LBB3_335:
	s_or_b32 exec_lo, exec_lo, s10
	s_wait_loadcnt 0x0
	global_load_b64 v[2:3], v[0:1], off offset:16
	s_wait_loadcnt 0x0
	v_cmp_eq_u64_e32 vcc_lo, 0, v[2:3]
	s_cbranch_vccnz .LBB3_337
; %bb.336:
	global_load_b32 v0, v[0:1], off offset:24
	v_mov_b32_e32 v1, 0
	s_wait_loadcnt 0x0
	v_readfirstlane_b32 s10, v0
	global_wb scope:SCOPE_SYS
	s_wait_storecnt 0x0
	global_store_b64 v[2:3], v[0:1], off scope:SCOPE_SYS
	s_and_b32 m0, s10, 0xffffff
	s_sendmsg sendmsg(MSG_INTERRUPT)
.LBB3_337:
	s_wait_alu 0xfffe
	s_or_b32 exec_lo, exec_lo, s3
	s_branch .LBB3_341
.LBB3_338:                              ;   in Loop: Header=BB3_341 Depth=1
	s_wait_alu 0xfffe
	s_or_b32 exec_lo, exec_lo, s3
	s_delay_alu instid0(VALU_DEP_1)
	v_readfirstlane_b32 s3, v0
	s_cmp_eq_u32 s3, 0
	s_cbranch_scc1 .LBB3_340
; %bb.339:                              ;   in Loop: Header=BB3_341 Depth=1
	s_sleep 1
	s_cbranch_execnz .LBB3_341
	s_branch .LBB3_343
.LBB3_340:
	s_branch .LBB3_343
.LBB3_341:                              ; =>This Inner Loop Header: Depth=1
	v_mov_b32_e32 v0, 1
	s_and_saveexec_b32 s3, s2
	s_cbranch_execz .LBB3_338
; %bb.342:                              ;   in Loop: Header=BB3_341 Depth=1
	global_load_b32 v0, v[8:9], off offset:20 scope:SCOPE_SYS
	s_wait_loadcnt 0x0
	global_inv scope:SCOPE_SYS
	v_and_b32_e32 v0, 1, v0
	s_branch .LBB3_338
.LBB3_343:
	global_load_b64 v[2:3], v[6:7], off
	s_and_saveexec_b32 s10, s2
	s_cbranch_execz .LBB3_347
; %bb.344:
	v_mov_b32_e32 v8, 0
	s_clause 0x2
	global_load_b64 v[0:1], v8, s[6:7] offset:40
	global_load_b64 v[11:12], v8, s[6:7] offset:24 scope:SCOPE_SYS
	global_load_b64 v[4:5], v8, s[6:7]
	s_wait_loadcnt 0x2
	v_readfirstlane_b32 s12, v0
	v_readfirstlane_b32 s13, v1
	s_add_nc_u64 s[2:3], s[12:13], 1
	s_wait_alu 0xfffe
	s_add_nc_u64 s[8:9], s[2:3], s[8:9]
	s_wait_alu 0xfffe
	s_cmp_eq_u64 s[8:9], 0
	s_cselect_b32 s3, s3, s9
	s_cselect_b32 s2, s2, s8
	s_wait_alu 0xfffe
	v_mov_b32_e32 v10, s3
	s_and_b64 s[8:9], s[2:3], s[12:13]
	v_mov_b32_e32 v9, s2
	s_wait_alu 0xfffe
	s_mul_u64 s[8:9], s[8:9], 24
	s_wait_loadcnt 0x0
	s_wait_alu 0xfffe
	v_add_co_u32 v0, vcc_lo, v4, s8
	s_wait_alu 0xfffd
	v_add_co_ci_u32_e64 v1, null, s9, v5, vcc_lo
	global_store_b64 v[0:1], v[11:12], off
	global_wb scope:SCOPE_SYS
	s_wait_storecnt 0x0
	global_atomic_cmpswap_b64 v[6:7], v8, v[9:12], s[6:7] offset:24 th:TH_ATOMIC_RETURN scope:SCOPE_SYS
	s_wait_loadcnt 0x0
	v_cmp_ne_u64_e32 vcc_lo, v[6:7], v[11:12]
	s_and_b32 exec_lo, exec_lo, vcc_lo
	s_cbranch_execz .LBB3_347
; %bb.345:
	s_mov_b32 s8, 0
.LBB3_346:                              ; =>This Inner Loop Header: Depth=1
	v_dual_mov_b32 v4, s2 :: v_dual_mov_b32 v5, s3
	s_sleep 1
	global_store_b64 v[0:1], v[6:7], off
	global_wb scope:SCOPE_SYS
	s_wait_storecnt 0x0
	global_atomic_cmpswap_b64 v[4:5], v8, v[4:7], s[6:7] offset:24 th:TH_ATOMIC_RETURN scope:SCOPE_SYS
	s_wait_loadcnt 0x0
	v_cmp_eq_u64_e32 vcc_lo, v[4:5], v[6:7]
	v_dual_mov_b32 v7, v5 :: v_dual_mov_b32 v6, v4
	s_wait_alu 0xfffe
	s_or_b32 s8, vcc_lo, s8
	s_wait_alu 0xfffe
	s_and_not1_b32 exec_lo, exec_lo, s8
	s_cbranch_execnz .LBB3_346
.LBB3_347:
	s_wait_alu 0xfffe
	s_or_b32 exec_lo, exec_lo, s10
.LBB3_348:
	v_readfirstlane_b32 s2, v33
	s_wait_loadcnt 0x0
	v_mov_b32_e32 v0, 0
	v_mov_b32_e32 v1, 0
	s_wait_alu 0xf1ff
	v_cmp_eq_u32_e64 s2, s2, v33
	s_and_saveexec_b32 s3, s2
	s_cbranch_execz .LBB3_354
; %bb.349:
	v_mov_b32_e32 v4, 0
	s_mov_b32 s8, exec_lo
	global_load_b64 v[7:8], v4, s[6:7] offset:24 scope:SCOPE_SYS
	s_wait_loadcnt 0x0
	global_inv scope:SCOPE_SYS
	s_clause 0x1
	global_load_b64 v[0:1], v4, s[6:7] offset:40
	global_load_b64 v[5:6], v4, s[6:7]
	s_wait_loadcnt 0x1
	v_and_b32_e32 v1, v1, v8
	v_and_b32_e32 v0, v0, v7
	s_delay_alu instid0(VALU_DEP_2) | instskip(NEXT) | instid1(VALU_DEP_2)
	v_mul_lo_u32 v1, 24, v1
	v_mul_lo_u32 v9, 0, v0
	v_mul_hi_u32 v10, 24, v0
	v_mul_lo_u32 v0, 24, v0
	s_delay_alu instid0(VALU_DEP_3) | instskip(SKIP_1) | instid1(VALU_DEP_2)
	v_add_nc_u32_e32 v1, v1, v9
	s_wait_loadcnt 0x0
	v_add_co_u32 v0, vcc_lo, v5, v0
	s_delay_alu instid0(VALU_DEP_2) | instskip(SKIP_1) | instid1(VALU_DEP_1)
	v_add_nc_u32_e32 v1, v1, v10
	s_wait_alu 0xfffd
	v_add_co_ci_u32_e64 v1, null, v6, v1, vcc_lo
	global_load_b64 v[5:6], v[0:1], off scope:SCOPE_SYS
	s_wait_loadcnt 0x0
	global_atomic_cmpswap_b64 v[0:1], v4, v[5:8], s[6:7] offset:24 th:TH_ATOMIC_RETURN scope:SCOPE_SYS
	s_wait_loadcnt 0x0
	global_inv scope:SCOPE_SYS
	v_cmpx_ne_u64_e64 v[0:1], v[7:8]
	s_cbranch_execz .LBB3_353
; %bb.350:
	s_mov_b32 s9, 0
.LBB3_351:                              ; =>This Inner Loop Header: Depth=1
	s_sleep 1
	s_clause 0x1
	global_load_b64 v[5:6], v4, s[6:7] offset:40
	global_load_b64 v[9:10], v4, s[6:7]
	v_dual_mov_b32 v8, v1 :: v_dual_mov_b32 v7, v0
	s_wait_loadcnt 0x1
	s_delay_alu instid0(VALU_DEP_1) | instskip(NEXT) | instid1(VALU_DEP_2)
	v_and_b32_e32 v0, v5, v7
	v_and_b32_e32 v5, v6, v8
	s_wait_loadcnt 0x0
	s_delay_alu instid0(VALU_DEP_2) | instskip(NEXT) | instid1(VALU_DEP_1)
	v_mad_co_u64_u32 v[0:1], null, v0, 24, v[9:10]
	v_mad_co_u64_u32 v[5:6], null, v5, 24, v[1:2]
	s_delay_alu instid0(VALU_DEP_1)
	v_mov_b32_e32 v1, v5
	global_load_b64 v[5:6], v[0:1], off scope:SCOPE_SYS
	s_wait_loadcnt 0x0
	global_atomic_cmpswap_b64 v[0:1], v4, v[5:8], s[6:7] offset:24 th:TH_ATOMIC_RETURN scope:SCOPE_SYS
	s_wait_loadcnt 0x0
	global_inv scope:SCOPE_SYS
	v_cmp_eq_u64_e32 vcc_lo, v[0:1], v[7:8]
	s_wait_alu 0xfffe
	s_or_b32 s9, vcc_lo, s9
	s_wait_alu 0xfffe
	s_and_not1_b32 exec_lo, exec_lo, s9
	s_cbranch_execnz .LBB3_351
; %bb.352:
	s_or_b32 exec_lo, exec_lo, s9
.LBB3_353:
	s_wait_alu 0xfffe
	s_or_b32 exec_lo, exec_lo, s8
.LBB3_354:
	s_wait_alu 0xfffe
	s_or_b32 exec_lo, exec_lo, s3
	v_readfirstlane_b32 s8, v0
	v_mov_b32_e32 v5, 0
	v_readfirstlane_b32 s9, v1
	s_mov_b32 s3, exec_lo
	s_clause 0x1
	global_load_b64 v[10:11], v5, s[6:7] offset:40
	global_load_b128 v[6:9], v5, s[6:7]
	s_wait_loadcnt 0x1
	s_wait_alu 0xf1ff
	v_and_b32_e32 v1, s9, v11
	v_and_b32_e32 v0, s8, v10
	s_delay_alu instid0(VALU_DEP_2) | instskip(NEXT) | instid1(VALU_DEP_2)
	v_mul_lo_u32 v4, 24, v1
	v_mul_lo_u32 v10, 0, v0
	v_mul_hi_u32 v11, 24, v0
	v_mul_lo_u32 v12, 24, v0
	s_delay_alu instid0(VALU_DEP_3) | instskip(SKIP_1) | instid1(VALU_DEP_2)
	v_add_nc_u32_e32 v4, v4, v10
	s_wait_loadcnt 0x0
	v_add_co_u32 v10, vcc_lo, v6, v12
	s_delay_alu instid0(VALU_DEP_2) | instskip(SKIP_1) | instid1(VALU_DEP_1)
	v_add_nc_u32_e32 v4, v4, v11
	s_wait_alu 0xfffd
	v_add_co_ci_u32_e64 v11, null, v7, v4, vcc_lo
	s_and_saveexec_b32 s10, s2
	s_cbranch_execz .LBB3_356
; %bb.355:
	s_wait_alu 0xfffe
	v_dual_mov_b32 v4, s3 :: v_dual_mov_b32 v15, 1
	v_dual_mov_b32 v14, 2 :: v_dual_mov_b32 v13, v5
	s_delay_alu instid0(VALU_DEP_2)
	v_mov_b32_e32 v12, v4
	global_store_b128 v[10:11], v[12:15], off offset:8
.LBB3_356:
	s_wait_alu 0xfffe
	s_or_b32 exec_lo, exec_lo, s10
	v_lshlrev_b64_e32 v[0:1], 12, v[0:1]
	s_mov_b32 s12, 0
	s_lshr_b32 s3, s20, 2
	s_wait_alu 0xfffe
	s_mov_b32 s13, s12
	s_mov_b32 s14, s12
	;; [unrolled: 1-line block ×3, first 2 shown]
	v_add_co_u32 v0, vcc_lo, v8, v0
	s_wait_alu 0xfffd
	v_add_co_ci_u32_e64 v1, null, v9, v1, vcc_lo
	v_and_or_b32 v2, 0xffffff1f, v2, 32
	s_delay_alu instid0(VALU_DEP_3)
	v_add_co_u32 v8, vcc_lo, v0, v32
	v_mov_b32_e32 v4, s3
	v_readfirstlane_b32 s10, v0
	v_readfirstlane_b32 s11, v1
	s_wait_alu 0xfffe
	v_dual_mov_b32 v12, s12 :: v_dual_mov_b32 v15, s15
	s_wait_alu 0xfffd
	v_add_co_ci_u32_e64 v9, null, 0, v1, vcc_lo
	v_dual_mov_b32 v13, s13 :: v_dual_mov_b32 v14, s14
	s_clause 0x3
	global_store_b128 v32, v[2:5], s[10:11]
	global_store_b128 v32, v[12:15], s[10:11] offset:16
	global_store_b128 v32, v[12:15], s[10:11] offset:32
	;; [unrolled: 1-line block ×3, first 2 shown]
	s_and_saveexec_b32 s3, s2
	s_cbranch_execz .LBB3_364
; %bb.357:
	v_mov_b32_e32 v12, 0
	s_mov_b32 s10, exec_lo
	s_clause 0x1
	global_load_b64 v[15:16], v12, s[6:7] offset:32 scope:SCOPE_SYS
	global_load_b64 v[0:1], v12, s[6:7] offset:40
	v_dual_mov_b32 v13, s8 :: v_dual_mov_b32 v14, s9
	s_wait_loadcnt 0x0
	v_and_b32_e32 v1, s9, v1
	v_and_b32_e32 v0, s8, v0
	s_delay_alu instid0(VALU_DEP_2) | instskip(NEXT) | instid1(VALU_DEP_2)
	v_mul_lo_u32 v1, 24, v1
	v_mul_lo_u32 v2, 0, v0
	v_mul_hi_u32 v3, 24, v0
	v_mul_lo_u32 v0, 24, v0
	s_delay_alu instid0(VALU_DEP_3) | instskip(NEXT) | instid1(VALU_DEP_2)
	v_add_nc_u32_e32 v1, v1, v2
	v_add_co_u32 v4, vcc_lo, v6, v0
	s_delay_alu instid0(VALU_DEP_2) | instskip(SKIP_1) | instid1(VALU_DEP_1)
	v_add_nc_u32_e32 v1, v1, v3
	s_wait_alu 0xfffd
	v_add_co_ci_u32_e64 v5, null, v7, v1, vcc_lo
	global_store_b64 v[4:5], v[15:16], off
	global_wb scope:SCOPE_SYS
	s_wait_storecnt 0x0
	global_atomic_cmpswap_b64 v[2:3], v12, v[13:16], s[6:7] offset:32 th:TH_ATOMIC_RETURN scope:SCOPE_SYS
	s_wait_loadcnt 0x0
	v_cmpx_ne_u64_e64 v[2:3], v[15:16]
	s_cbranch_execz .LBB3_360
; %bb.358:
	s_mov_b32 s11, 0
.LBB3_359:                              ; =>This Inner Loop Header: Depth=1
	v_dual_mov_b32 v0, s8 :: v_dual_mov_b32 v1, s9
	s_sleep 1
	global_store_b64 v[4:5], v[2:3], off
	global_wb scope:SCOPE_SYS
	s_wait_storecnt 0x0
	global_atomic_cmpswap_b64 v[0:1], v12, v[0:3], s[6:7] offset:32 th:TH_ATOMIC_RETURN scope:SCOPE_SYS
	s_wait_loadcnt 0x0
	v_cmp_eq_u64_e32 vcc_lo, v[0:1], v[2:3]
	v_dual_mov_b32 v3, v1 :: v_dual_mov_b32 v2, v0
	s_wait_alu 0xfffe
	s_or_b32 s11, vcc_lo, s11
	s_wait_alu 0xfffe
	s_and_not1_b32 exec_lo, exec_lo, s11
	s_cbranch_execnz .LBB3_359
.LBB3_360:
	s_wait_alu 0xfffe
	s_or_b32 exec_lo, exec_lo, s10
	v_mov_b32_e32 v3, 0
	s_mov_b32 s11, exec_lo
	s_mov_b32 s10, exec_lo
	s_wait_alu 0xfffe
	v_mbcnt_lo_u32_b32 v2, s11, 0
	global_load_b64 v[0:1], v3, s[6:7] offset:16
	v_cmpx_eq_u32_e32 0, v2
	s_cbranch_execz .LBB3_362
; %bb.361:
	s_bcnt1_i32_b32 s11, s11
	s_wait_alu 0xfffe
	v_mov_b32_e32 v2, s11
	global_wb scope:SCOPE_SYS
	s_wait_loadcnt 0x0
	s_wait_storecnt 0x0
	global_atomic_add_u64 v[0:1], v[2:3], off offset:8 scope:SCOPE_SYS
.LBB3_362:
	s_or_b32 exec_lo, exec_lo, s10
	s_wait_loadcnt 0x0
	global_load_b64 v[2:3], v[0:1], off offset:16
	s_wait_loadcnt 0x0
	v_cmp_eq_u64_e32 vcc_lo, 0, v[2:3]
	s_cbranch_vccnz .LBB3_364
; %bb.363:
	global_load_b32 v0, v[0:1], off offset:24
	v_mov_b32_e32 v1, 0
	s_wait_loadcnt 0x0
	v_readfirstlane_b32 s10, v0
	global_wb scope:SCOPE_SYS
	s_wait_storecnt 0x0
	global_store_b64 v[2:3], v[0:1], off scope:SCOPE_SYS
	s_and_b32 m0, s10, 0xffffff
	s_sendmsg sendmsg(MSG_INTERRUPT)
.LBB3_364:
	s_wait_alu 0xfffe
	s_or_b32 exec_lo, exec_lo, s3
	s_branch .LBB3_368
.LBB3_365:                              ;   in Loop: Header=BB3_368 Depth=1
	s_wait_alu 0xfffe
	s_or_b32 exec_lo, exec_lo, s3
	s_delay_alu instid0(VALU_DEP_1)
	v_readfirstlane_b32 s3, v0
	s_cmp_eq_u32 s3, 0
	s_cbranch_scc1 .LBB3_367
; %bb.366:                              ;   in Loop: Header=BB3_368 Depth=1
	s_sleep 1
	s_cbranch_execnz .LBB3_368
	s_branch .LBB3_370
.LBB3_367:
	s_branch .LBB3_370
.LBB3_368:                              ; =>This Inner Loop Header: Depth=1
	v_mov_b32_e32 v0, 1
	s_and_saveexec_b32 s3, s2
	s_cbranch_execz .LBB3_365
; %bb.369:                              ;   in Loop: Header=BB3_368 Depth=1
	global_load_b32 v0, v[10:11], off offset:20 scope:SCOPE_SYS
	s_wait_loadcnt 0x0
	global_inv scope:SCOPE_SYS
	v_and_b32_e32 v0, 1, v0
	s_branch .LBB3_365
.LBB3_370:
	global_load_b64 v[0:1], v[8:9], off
	s_and_saveexec_b32 s10, s2
	s_cbranch_execz .LBB3_374
; %bb.371:
	v_mov_b32_e32 v8, 0
	s_clause 0x2
	global_load_b64 v[2:3], v8, s[6:7] offset:40
	global_load_b64 v[11:12], v8, s[6:7] offset:24 scope:SCOPE_SYS
	global_load_b64 v[4:5], v8, s[6:7]
	s_wait_loadcnt 0x2
	v_readfirstlane_b32 s12, v2
	v_readfirstlane_b32 s13, v3
	s_add_nc_u64 s[2:3], s[12:13], 1
	s_wait_alu 0xfffe
	s_add_nc_u64 s[8:9], s[2:3], s[8:9]
	s_wait_alu 0xfffe
	s_cmp_eq_u64 s[8:9], 0
	s_cselect_b32 s3, s3, s9
	s_cselect_b32 s2, s2, s8
	s_wait_alu 0xfffe
	v_mov_b32_e32 v10, s3
	s_and_b64 s[8:9], s[2:3], s[12:13]
	v_mov_b32_e32 v9, s2
	s_wait_alu 0xfffe
	s_mul_u64 s[8:9], s[8:9], 24
	s_wait_loadcnt 0x0
	s_wait_alu 0xfffe
	v_add_co_u32 v6, vcc_lo, v4, s8
	s_wait_alu 0xfffd
	v_add_co_ci_u32_e64 v7, null, s9, v5, vcc_lo
	global_store_b64 v[6:7], v[11:12], off
	global_wb scope:SCOPE_SYS
	s_wait_storecnt 0x0
	global_atomic_cmpswap_b64 v[4:5], v8, v[9:12], s[6:7] offset:24 th:TH_ATOMIC_RETURN scope:SCOPE_SYS
	s_wait_loadcnt 0x0
	v_cmp_ne_u64_e32 vcc_lo, v[4:5], v[11:12]
	s_and_b32 exec_lo, exec_lo, vcc_lo
	s_cbranch_execz .LBB3_374
; %bb.372:
	s_mov_b32 s8, 0
.LBB3_373:                              ; =>This Inner Loop Header: Depth=1
	v_dual_mov_b32 v2, s2 :: v_dual_mov_b32 v3, s3
	s_sleep 1
	global_store_b64 v[6:7], v[4:5], off
	global_wb scope:SCOPE_SYS
	s_wait_storecnt 0x0
	global_atomic_cmpswap_b64 v[2:3], v8, v[2:5], s[6:7] offset:24 th:TH_ATOMIC_RETURN scope:SCOPE_SYS
	s_wait_loadcnt 0x0
	v_cmp_eq_u64_e32 vcc_lo, v[2:3], v[4:5]
	v_dual_mov_b32 v5, v3 :: v_dual_mov_b32 v4, v2
	s_wait_alu 0xfffe
	s_or_b32 s8, vcc_lo, s8
	s_wait_alu 0xfffe
	s_and_not1_b32 exec_lo, exec_lo, s8
	s_cbranch_execnz .LBB3_373
.LBB3_374:
	s_wait_alu 0xfffe
	s_or_b32 exec_lo, exec_lo, s10
	v_readfirstlane_b32 s2, v33
	v_mov_b32_e32 v8, 0
	v_mov_b32_e32 v9, 0
	s_wait_alu 0xf1ff
	s_delay_alu instid0(VALU_DEP_3)
	v_cmp_eq_u32_e64 s2, s2, v33
	s_and_saveexec_b32 s3, s2
	s_cbranch_execz .LBB3_380
; %bb.375:
	v_mov_b32_e32 v2, 0
	s_mov_b32 s8, exec_lo
	global_load_b64 v[5:6], v2, s[6:7] offset:24 scope:SCOPE_SYS
	s_wait_loadcnt 0x0
	global_inv scope:SCOPE_SYS
	s_clause 0x1
	global_load_b64 v[3:4], v2, s[6:7] offset:40
	global_load_b64 v[7:8], v2, s[6:7]
	s_wait_loadcnt 0x1
	v_and_b32_e32 v4, v4, v6
	v_and_b32_e32 v3, v3, v5
	s_delay_alu instid0(VALU_DEP_2) | instskip(NEXT) | instid1(VALU_DEP_2)
	v_mul_lo_u32 v4, 24, v4
	v_mul_lo_u32 v9, 0, v3
	v_mul_hi_u32 v10, 24, v3
	v_mul_lo_u32 v3, 24, v3
	s_delay_alu instid0(VALU_DEP_3) | instskip(SKIP_1) | instid1(VALU_DEP_2)
	v_add_nc_u32_e32 v4, v4, v9
	s_wait_loadcnt 0x0
	v_add_co_u32 v3, vcc_lo, v7, v3
	s_delay_alu instid0(VALU_DEP_2) | instskip(SKIP_1) | instid1(VALU_DEP_1)
	v_add_nc_u32_e32 v4, v4, v10
	s_wait_alu 0xfffd
	v_add_co_ci_u32_e64 v4, null, v8, v4, vcc_lo
	global_load_b64 v[3:4], v[3:4], off scope:SCOPE_SYS
	s_wait_loadcnt 0x0
	global_atomic_cmpswap_b64 v[8:9], v2, v[3:6], s[6:7] offset:24 th:TH_ATOMIC_RETURN scope:SCOPE_SYS
	s_wait_loadcnt 0x0
	global_inv scope:SCOPE_SYS
	v_cmpx_ne_u64_e64 v[8:9], v[5:6]
	s_cbranch_execz .LBB3_379
; %bb.376:
	s_mov_b32 s9, 0
.LBB3_377:                              ; =>This Inner Loop Header: Depth=1
	s_sleep 1
	s_clause 0x1
	global_load_b64 v[3:4], v2, s[6:7] offset:40
	global_load_b64 v[10:11], v2, s[6:7]
	v_dual_mov_b32 v5, v8 :: v_dual_mov_b32 v6, v9
	s_wait_loadcnt 0x1
	s_delay_alu instid0(VALU_DEP_1) | instskip(NEXT) | instid1(VALU_DEP_2)
	v_and_b32_e32 v3, v3, v5
	v_and_b32_e32 v4, v4, v6
	s_wait_loadcnt 0x0
	s_delay_alu instid0(VALU_DEP_2) | instskip(NEXT) | instid1(VALU_DEP_1)
	v_mad_co_u64_u32 v[7:8], null, v3, 24, v[10:11]
	v_mov_b32_e32 v3, v8
	s_delay_alu instid0(VALU_DEP_1) | instskip(NEXT) | instid1(VALU_DEP_1)
	v_mad_co_u64_u32 v[3:4], null, v4, 24, v[3:4]
	v_mov_b32_e32 v8, v3
	global_load_b64 v[3:4], v[7:8], off scope:SCOPE_SYS
	s_wait_loadcnt 0x0
	global_atomic_cmpswap_b64 v[8:9], v2, v[3:6], s[6:7] offset:24 th:TH_ATOMIC_RETURN scope:SCOPE_SYS
	s_wait_loadcnt 0x0
	global_inv scope:SCOPE_SYS
	v_cmp_eq_u64_e32 vcc_lo, v[8:9], v[5:6]
	s_wait_alu 0xfffe
	s_or_b32 s9, vcc_lo, s9
	s_wait_alu 0xfffe
	s_and_not1_b32 exec_lo, exec_lo, s9
	s_cbranch_execnz .LBB3_377
; %bb.378:
	s_or_b32 exec_lo, exec_lo, s9
.LBB3_379:
	s_wait_alu 0xfffe
	s_or_b32 exec_lo, exec_lo, s8
.LBB3_380:
	s_wait_alu 0xfffe
	s_or_b32 exec_lo, exec_lo, s3
	v_readfirstlane_b32 s8, v8
	v_mov_b32_e32 v3, 0
	v_readfirstlane_b32 s9, v9
	s_mov_b32 s3, exec_lo
	s_clause 0x1
	global_load_b64 v[10:11], v3, s[6:7] offset:40
	global_load_b128 v[4:7], v3, s[6:7]
	s_wait_loadcnt 0x1
	s_wait_alu 0xf1ff
	v_and_b32_e32 v11, s9, v11
	v_and_b32_e32 v10, s8, v10
	s_delay_alu instid0(VALU_DEP_2) | instskip(NEXT) | instid1(VALU_DEP_2)
	v_mul_lo_u32 v2, 24, v11
	v_mul_lo_u32 v8, 0, v10
	v_mul_hi_u32 v9, 24, v10
	v_mul_lo_u32 v12, 24, v10
	s_delay_alu instid0(VALU_DEP_3) | instskip(SKIP_1) | instid1(VALU_DEP_2)
	v_add_nc_u32_e32 v2, v2, v8
	s_wait_loadcnt 0x0
	v_add_co_u32 v8, vcc_lo, v4, v12
	s_delay_alu instid0(VALU_DEP_2) | instskip(SKIP_1) | instid1(VALU_DEP_1)
	v_add_nc_u32_e32 v2, v2, v9
	s_wait_alu 0xfffd
	v_add_co_ci_u32_e64 v9, null, v5, v2, vcc_lo
	s_and_saveexec_b32 s10, s2
	s_cbranch_execz .LBB3_382
; %bb.381:
	s_wait_alu 0xfffe
	v_dual_mov_b32 v2, s3 :: v_dual_mov_b32 v15, 1
	v_dual_mov_b32 v14, 2 :: v_dual_mov_b32 v13, v3
	s_delay_alu instid0(VALU_DEP_2)
	v_mov_b32_e32 v12, v2
	global_store_b128 v[8:9], v[12:15], off offset:8
.LBB3_382:
	s_wait_alu 0xfffe
	s_or_b32 exec_lo, exec_lo, s10
	v_lshlrev_b64_e32 v[10:11], 12, v[10:11]
	s_mov_b32 s12, 0
	v_and_or_b32 v0, 0xffffff1d, v0, 34
	s_wait_alu 0xfffe
	s_mov_b32 s13, s12
	s_mov_b32 s14, s12
	;; [unrolled: 1-line block ×3, first 2 shown]
	v_add_co_u32 v6, vcc_lo, v6, v10
	s_wait_alu 0xfffd
	v_add_co_ci_u32_e64 v7, null, v7, v11, vcc_lo
	v_mov_b32_e32 v2, 4
	s_delay_alu instid0(VALU_DEP_3)
	v_readfirstlane_b32 s10, v6
	s_wait_alu 0xfffe
	v_dual_mov_b32 v10, s12 :: v_dual_mov_b32 v13, s15
	v_readfirstlane_b32 s11, v7
	v_dual_mov_b32 v11, s13 :: v_dual_mov_b32 v12, s14
	s_clause 0x3
	global_store_b128 v32, v[0:3], s[10:11]
	global_store_b128 v32, v[10:13], s[10:11] offset:16
	global_store_b128 v32, v[10:13], s[10:11] offset:32
	global_store_b128 v32, v[10:13], s[10:11] offset:48
	s_and_saveexec_b32 s3, s2
	s_cbranch_execz .LBB3_390
; %bb.383:
	v_mov_b32_e32 v6, 0
	s_mov_b32 s10, exec_lo
	s_clause 0x1
	global_load_b64 v[12:13], v6, s[6:7] offset:32 scope:SCOPE_SYS
	global_load_b64 v[0:1], v6, s[6:7] offset:40
	v_dual_mov_b32 v11, s9 :: v_dual_mov_b32 v10, s8
	s_wait_loadcnt 0x0
	v_and_b32_e32 v1, s9, v1
	v_and_b32_e32 v0, s8, v0
	s_delay_alu instid0(VALU_DEP_2) | instskip(NEXT) | instid1(VALU_DEP_2)
	v_mul_lo_u32 v1, 24, v1
	v_mul_lo_u32 v2, 0, v0
	v_mul_hi_u32 v3, 24, v0
	v_mul_lo_u32 v0, 24, v0
	s_delay_alu instid0(VALU_DEP_3) | instskip(NEXT) | instid1(VALU_DEP_2)
	v_add_nc_u32_e32 v1, v1, v2
	v_add_co_u32 v4, vcc_lo, v4, v0
	s_delay_alu instid0(VALU_DEP_2) | instskip(SKIP_1) | instid1(VALU_DEP_1)
	v_add_nc_u32_e32 v1, v1, v3
	s_wait_alu 0xfffd
	v_add_co_ci_u32_e64 v5, null, v5, v1, vcc_lo
	global_store_b64 v[4:5], v[12:13], off
	global_wb scope:SCOPE_SYS
	s_wait_storecnt 0x0
	global_atomic_cmpswap_b64 v[2:3], v6, v[10:13], s[6:7] offset:32 th:TH_ATOMIC_RETURN scope:SCOPE_SYS
	s_wait_loadcnt 0x0
	v_cmpx_ne_u64_e64 v[2:3], v[12:13]
	s_cbranch_execz .LBB3_386
; %bb.384:
	s_mov_b32 s11, 0
.LBB3_385:                              ; =>This Inner Loop Header: Depth=1
	v_dual_mov_b32 v0, s8 :: v_dual_mov_b32 v1, s9
	s_sleep 1
	global_store_b64 v[4:5], v[2:3], off
	global_wb scope:SCOPE_SYS
	s_wait_storecnt 0x0
	global_atomic_cmpswap_b64 v[0:1], v6, v[0:3], s[6:7] offset:32 th:TH_ATOMIC_RETURN scope:SCOPE_SYS
	s_wait_loadcnt 0x0
	v_cmp_eq_u64_e32 vcc_lo, v[0:1], v[2:3]
	v_dual_mov_b32 v3, v1 :: v_dual_mov_b32 v2, v0
	s_wait_alu 0xfffe
	s_or_b32 s11, vcc_lo, s11
	s_wait_alu 0xfffe
	s_and_not1_b32 exec_lo, exec_lo, s11
	s_cbranch_execnz .LBB3_385
.LBB3_386:
	s_wait_alu 0xfffe
	s_or_b32 exec_lo, exec_lo, s10
	v_mov_b32_e32 v3, 0
	s_mov_b32 s11, exec_lo
	s_mov_b32 s10, exec_lo
	s_wait_alu 0xfffe
	v_mbcnt_lo_u32_b32 v2, s11, 0
	global_load_b64 v[0:1], v3, s[6:7] offset:16
	v_cmpx_eq_u32_e32 0, v2
	s_cbranch_execz .LBB3_388
; %bb.387:
	s_bcnt1_i32_b32 s11, s11
	s_wait_alu 0xfffe
	v_mov_b32_e32 v2, s11
	global_wb scope:SCOPE_SYS
	s_wait_loadcnt 0x0
	s_wait_storecnt 0x0
	global_atomic_add_u64 v[0:1], v[2:3], off offset:8 scope:SCOPE_SYS
.LBB3_388:
	s_or_b32 exec_lo, exec_lo, s10
	s_wait_loadcnt 0x0
	global_load_b64 v[2:3], v[0:1], off offset:16
	s_wait_loadcnt 0x0
	v_cmp_eq_u64_e32 vcc_lo, 0, v[2:3]
	s_cbranch_vccnz .LBB3_390
; %bb.389:
	global_load_b32 v0, v[0:1], off offset:24
	v_mov_b32_e32 v1, 0
	s_wait_loadcnt 0x0
	v_readfirstlane_b32 s10, v0
	global_wb scope:SCOPE_SYS
	s_wait_storecnt 0x0
	global_store_b64 v[2:3], v[0:1], off scope:SCOPE_SYS
	s_and_b32 m0, s10, 0xffffff
	s_sendmsg sendmsg(MSG_INTERRUPT)
.LBB3_390:
	s_wait_alu 0xfffe
	s_or_b32 exec_lo, exec_lo, s3
	s_branch .LBB3_394
.LBB3_391:                              ;   in Loop: Header=BB3_394 Depth=1
	s_wait_alu 0xfffe
	s_or_b32 exec_lo, exec_lo, s3
	s_delay_alu instid0(VALU_DEP_1)
	v_readfirstlane_b32 s3, v0
	s_cmp_eq_u32 s3, 0
	s_cbranch_scc1 .LBB3_393
; %bb.392:                              ;   in Loop: Header=BB3_394 Depth=1
	s_sleep 1
	s_cbranch_execnz .LBB3_394
	s_branch .LBB3_396
.LBB3_393:
	s_branch .LBB3_396
.LBB3_394:                              ; =>This Inner Loop Header: Depth=1
	v_mov_b32_e32 v0, 1
	s_and_saveexec_b32 s3, s2
	s_cbranch_execz .LBB3_391
; %bb.395:                              ;   in Loop: Header=BB3_394 Depth=1
	global_load_b32 v0, v[8:9], off offset:20 scope:SCOPE_SYS
	s_wait_loadcnt 0x0
	global_inv scope:SCOPE_SYS
	v_and_b32_e32 v0, 1, v0
	s_branch .LBB3_391
.LBB3_396:
	s_and_b32 exec_lo, exec_lo, s2
	s_cbranch_execz .LBB3_400
; %bb.397:
	v_mov_b32_e32 v6, 0
	s_clause 0x2
	global_load_b64 v[0:1], v6, s[6:7] offset:40
	global_load_b64 v[9:10], v6, s[6:7] offset:24 scope:SCOPE_SYS
	global_load_b64 v[2:3], v6, s[6:7]
	s_wait_loadcnt 0x2
	v_readfirstlane_b32 s10, v0
	v_readfirstlane_b32 s11, v1
	s_add_nc_u64 s[2:3], s[10:11], 1
	s_wait_alu 0xfffe
	s_add_nc_u64 s[8:9], s[2:3], s[8:9]
	s_wait_alu 0xfffe
	s_cmp_eq_u64 s[8:9], 0
	s_cselect_b32 s3, s3, s9
	s_cselect_b32 s2, s2, s8
	s_wait_alu 0xfffe
	v_mov_b32_e32 v8, s3
	s_and_b64 s[8:9], s[2:3], s[10:11]
	v_mov_b32_e32 v7, s2
	s_wait_alu 0xfffe
	s_mul_u64 s[8:9], s[8:9], 24
	s_wait_loadcnt 0x0
	s_wait_alu 0xfffe
	v_add_co_u32 v4, vcc_lo, v2, s8
	s_wait_alu 0xfffd
	v_add_co_ci_u32_e64 v5, null, s9, v3, vcc_lo
	global_store_b64 v[4:5], v[9:10], off
	global_wb scope:SCOPE_SYS
	s_wait_storecnt 0x0
	global_atomic_cmpswap_b64 v[2:3], v6, v[7:10], s[6:7] offset:24 th:TH_ATOMIC_RETURN scope:SCOPE_SYS
	s_wait_loadcnt 0x0
	v_cmp_ne_u64_e32 vcc_lo, v[2:3], v[9:10]
	s_and_b32 exec_lo, exec_lo, vcc_lo
	s_cbranch_execz .LBB3_400
; %bb.398:
	s_mov_b32 s8, 0
.LBB3_399:                              ; =>This Inner Loop Header: Depth=1
	v_dual_mov_b32 v0, s2 :: v_dual_mov_b32 v1, s3
	s_sleep 1
	global_store_b64 v[4:5], v[2:3], off
	global_wb scope:SCOPE_SYS
	s_wait_storecnt 0x0
	global_atomic_cmpswap_b64 v[0:1], v6, v[0:3], s[6:7] offset:24 th:TH_ATOMIC_RETURN scope:SCOPE_SYS
	s_wait_loadcnt 0x0
	v_cmp_eq_u64_e32 vcc_lo, v[0:1], v[2:3]
	v_dual_mov_b32 v3, v1 :: v_dual_mov_b32 v2, v0
	s_wait_alu 0xfffe
	s_or_b32 s8, vcc_lo, s8
	s_wait_alu 0xfffe
	s_and_not1_b32 exec_lo, exec_lo, s8
	s_cbranch_execnz .LBB3_399
.LBB3_400:
	s_wait_alu 0xfffe
	s_or_b32 exec_lo, exec_lo, s23
	v_and_b32_e32 v0, -4, v26
	v_and_b32_e32 v4, 3, v26
	s_mov_b32 s2, exec_lo
	s_wait_loadcnt 0x0
	s_wait_storecnt 0x0
	s_barrier_signal -1
	v_ashrrev_i32_e32 v1, 31, v0
	v_lshlrev_b32_e32 v2, 2, v4
	s_barrier_wait -1
	global_inv scope:SCOPE_SE
	v_lshlrev_b64_e32 v[0:1], 2, v[0:1]
	s_delay_alu instid0(VALU_DEP_1) | instskip(SKIP_1) | instid1(VALU_DEP_2)
	v_add_co_u32 v0, vcc_lo, s22, v0
	s_wait_alu 0xfffd
	v_add_co_ci_u32_e64 v1, null, s21, v1, vcc_lo
	s_delay_alu instid0(VALU_DEP_2) | instskip(SKIP_1) | instid1(VALU_DEP_2)
	v_add_co_u32 v2, vcc_lo, v0, v2
	s_wait_alu 0xfffd
	v_add_co_ci_u32_e64 v3, null, 0, v1, vcc_lo
	flat_store_b32 v[2:3], v26
	s_wait_storecnt 0x0
	s_wait_loadcnt_dscnt 0x0
	global_inv scope:SCOPE_DEV
	v_cmpx_gt_u32_e32 2, v4
	s_cbranch_execz .LBB3_402
; %bb.401:
	flat_load_b32 v5, v[2:3] offset:8
	s_wait_loadcnt_dscnt 0x0
	v_add_nc_u32_e32 v31, v5, v26
.LBB3_402:
	s_wait_alu 0xfffe
	s_or_b32 exec_lo, exec_lo, s2
	v_cmp_eq_u32_e64 s2, 0, v4
	s_wait_loadcnt 0x0
	global_inv scope:SCOPE_DEV
	flat_store_b32 v[2:3], v31
	s_wait_storecnt 0x0
	s_wait_loadcnt_dscnt 0x0
	global_inv scope:SCOPE_DEV
	s_and_saveexec_b32 s3, s2
	s_cbranch_execnz .LBB3_405
; %bb.403:
	s_wait_alu 0xfffe
	s_or_b32 exec_lo, exec_lo, s3
	s_wait_loadcnt 0x0
	global_inv scope:SCOPE_DEV
	s_and_saveexec_b32 s3, s2
	s_cbranch_execnz .LBB3_406
.LBB3_404:
	s_endpgm
.LBB3_405:
	flat_load_b32 v0, v[0:1] offset:4
	s_wait_loadcnt_dscnt 0x0
	v_add_nc_u32_e32 v31, v0, v31
	s_wait_alu 0xfffe
	s_or_b32 exec_lo, exec_lo, s3
	global_inv scope:SCOPE_DEV
	s_and_saveexec_b32 s3, s2
	s_cbranch_execz .LBB3_404
.LBB3_406:
	s_load_b64 s[4:5], s[4:5], 0x50
	v_mbcnt_lo_u32_b32 v33, -1, 0
	v_mov_b32_e32 v6, 0
	v_mov_b32_e32 v7, 0
	s_delay_alu instid0(VALU_DEP_3) | instskip(SKIP_1) | instid1(VALU_DEP_1)
	v_readfirstlane_b32 s3, v33
	s_wait_alu 0xf1ff
	v_cmp_eq_u32_e64 s3, s3, v33
	s_and_saveexec_b32 s6, s3
	s_cbranch_execz .LBB3_412
; %bb.407:
	v_mov_b32_e32 v0, 0
	s_mov_b32 s7, exec_lo
	s_wait_kmcnt 0x0
	global_load_b64 v[3:4], v0, s[4:5] offset:24 scope:SCOPE_SYS
	s_wait_loadcnt 0x0
	global_inv scope:SCOPE_SYS
	s_clause 0x1
	global_load_b64 v[1:2], v0, s[4:5] offset:40
	global_load_b64 v[5:6], v0, s[4:5]
	s_wait_loadcnt 0x1
	v_and_b32_e32 v2, v2, v4
	v_and_b32_e32 v1, v1, v3
	s_delay_alu instid0(VALU_DEP_2) | instskip(NEXT) | instid1(VALU_DEP_2)
	v_mul_lo_u32 v2, 24, v2
	v_mul_lo_u32 v7, 0, v1
	v_mul_hi_u32 v8, 24, v1
	v_mul_lo_u32 v1, 24, v1
	s_delay_alu instid0(VALU_DEP_3) | instskip(SKIP_1) | instid1(VALU_DEP_2)
	v_add_nc_u32_e32 v2, v2, v7
	s_wait_loadcnt 0x0
	v_add_co_u32 v1, vcc_lo, v5, v1
	s_delay_alu instid0(VALU_DEP_2) | instskip(SKIP_1) | instid1(VALU_DEP_1)
	v_add_nc_u32_e32 v2, v2, v8
	s_wait_alu 0xfffd
	v_add_co_ci_u32_e64 v2, null, v6, v2, vcc_lo
	global_load_b64 v[1:2], v[1:2], off scope:SCOPE_SYS
	s_wait_loadcnt 0x0
	global_atomic_cmpswap_b64 v[6:7], v0, v[1:4], s[4:5] offset:24 th:TH_ATOMIC_RETURN scope:SCOPE_SYS
	s_wait_loadcnt 0x0
	global_inv scope:SCOPE_SYS
	v_cmpx_ne_u64_e64 v[6:7], v[3:4]
	s_cbranch_execz .LBB3_411
; %bb.408:
	s_mov_b32 s8, 0
.LBB3_409:                              ; =>This Inner Loop Header: Depth=1
	s_sleep 1
	s_clause 0x1
	global_load_b64 v[1:2], v0, s[4:5] offset:40
	global_load_b64 v[8:9], v0, s[4:5]
	v_dual_mov_b32 v3, v6 :: v_dual_mov_b32 v4, v7
	s_wait_loadcnt 0x1
	s_delay_alu instid0(VALU_DEP_1) | instskip(NEXT) | instid1(VALU_DEP_2)
	v_and_b32_e32 v1, v1, v3
	v_and_b32_e32 v2, v2, v4
	s_wait_loadcnt 0x0
	s_delay_alu instid0(VALU_DEP_2) | instskip(NEXT) | instid1(VALU_DEP_1)
	v_mad_co_u64_u32 v[5:6], null, v1, 24, v[8:9]
	v_mov_b32_e32 v1, v6
	s_delay_alu instid0(VALU_DEP_1) | instskip(NEXT) | instid1(VALU_DEP_1)
	v_mad_co_u64_u32 v[1:2], null, v2, 24, v[1:2]
	v_mov_b32_e32 v6, v1
	global_load_b64 v[1:2], v[5:6], off scope:SCOPE_SYS
	s_wait_loadcnt 0x0
	global_atomic_cmpswap_b64 v[6:7], v0, v[1:4], s[4:5] offset:24 th:TH_ATOMIC_RETURN scope:SCOPE_SYS
	s_wait_loadcnt 0x0
	global_inv scope:SCOPE_SYS
	v_cmp_eq_u64_e32 vcc_lo, v[6:7], v[3:4]
	s_wait_alu 0xfffe
	s_or_b32 s8, vcc_lo, s8
	s_wait_alu 0xfffe
	s_and_not1_b32 exec_lo, exec_lo, s8
	s_cbranch_execnz .LBB3_409
; %bb.410:
	s_or_b32 exec_lo, exec_lo, s8
.LBB3_411:
	s_wait_alu 0xfffe
	s_or_b32 exec_lo, exec_lo, s7
.LBB3_412:
	s_wait_alu 0xfffe
	s_or_b32 exec_lo, exec_lo, s6
	v_readfirstlane_b32 s6, v6
	v_mov_b32_e32 v5, 0
	v_readfirstlane_b32 s7, v7
	s_mov_b32 s8, exec_lo
	s_wait_kmcnt 0x0
	s_clause 0x1
	global_load_b64 v[8:9], v5, s[4:5] offset:40
	global_load_b128 v[0:3], v5, s[4:5]
	s_wait_loadcnt 0x1
	s_wait_alu 0xf1ff
	v_and_b32_e32 v11, s7, v9
	v_and_b32_e32 v10, s6, v8
	s_delay_alu instid0(VALU_DEP_2) | instskip(NEXT) | instid1(VALU_DEP_2)
	v_mul_lo_u32 v4, 24, v11
	v_mul_lo_u32 v6, 0, v10
	v_mul_hi_u32 v7, 24, v10
	v_mul_lo_u32 v8, 24, v10
	s_delay_alu instid0(VALU_DEP_3) | instskip(SKIP_1) | instid1(VALU_DEP_2)
	v_add_nc_u32_e32 v4, v4, v6
	s_wait_loadcnt 0x0
	v_add_co_u32 v8, vcc_lo, v0, v8
	s_delay_alu instid0(VALU_DEP_2) | instskip(SKIP_1) | instid1(VALU_DEP_1)
	v_add_nc_u32_e32 v4, v4, v7
	s_wait_alu 0xfffd
	v_add_co_ci_u32_e64 v9, null, v1, v4, vcc_lo
	s_and_saveexec_b32 s9, s3
	s_cbranch_execz .LBB3_414
; %bb.413:
	s_wait_alu 0xfffe
	v_dual_mov_b32 v4, s8 :: v_dual_mov_b32 v7, 1
	v_mov_b32_e32 v6, 2
	global_store_b128 v[8:9], v[4:7], off offset:8
.LBB3_414:
	s_wait_alu 0xfffe
	s_or_b32 exec_lo, exec_lo, s9
	v_lshlrev_b64_e32 v[10:11], 12, v[10:11]
	v_dual_mov_b32 v7, v5 :: v_dual_lshlrev_b32 v32, 6, v33
	s_mov_b32 s8, 0
	s_wait_alu 0xfffe
	s_mov_b32 s11, s8
	s_delay_alu instid0(VALU_DEP_2)
	v_add_co_u32 v2, vcc_lo, v2, v10
	s_wait_alu 0xfffd
	v_add_co_ci_u32_e64 v3, null, v3, v11, vcc_lo
	s_mov_b32 s9, s8
	v_add_co_u32 v10, vcc_lo, v2, v32
	s_mov_b32 s10, s8
	s_wait_alu 0xfffe
	v_dual_mov_b32 v4, 33 :: v_dual_mov_b32 v15, s11
	v_dual_mov_b32 v6, v5 :: v_dual_mov_b32 v13, s9
	v_readfirstlane_b32 s12, v2
	v_readfirstlane_b32 s13, v3
	s_wait_alu 0xfffd
	v_add_co_ci_u32_e64 v11, null, 0, v3, vcc_lo
	v_mov_b32_e32 v14, s10
	v_mov_b32_e32 v12, s8
	s_clause 0x3
	global_store_b128 v32, v[4:7], s[12:13]
	global_store_b128 v32, v[12:15], s[12:13] offset:16
	global_store_b128 v32, v[12:15], s[12:13] offset:32
	global_store_b128 v32, v[12:15], s[12:13] offset:48
	s_and_saveexec_b32 s8, s3
	s_cbranch_execz .LBB3_422
; %bb.415:
	v_mov_b32_e32 v6, 0
	s_mov_b32 s9, exec_lo
	s_clause 0x1
	global_load_b64 v[14:15], v6, s[4:5] offset:32 scope:SCOPE_SYS
	global_load_b64 v[2:3], v6, s[4:5] offset:40
	v_dual_mov_b32 v13, s7 :: v_dual_mov_b32 v12, s6
	s_wait_loadcnt 0x0
	v_and_b32_e32 v3, s7, v3
	v_and_b32_e32 v2, s6, v2
	s_delay_alu instid0(VALU_DEP_2) | instskip(NEXT) | instid1(VALU_DEP_2)
	v_mul_lo_u32 v3, 24, v3
	v_mul_lo_u32 v4, 0, v2
	v_mul_hi_u32 v5, 24, v2
	v_mul_lo_u32 v2, 24, v2
	s_delay_alu instid0(VALU_DEP_3) | instskip(NEXT) | instid1(VALU_DEP_2)
	v_add_nc_u32_e32 v3, v3, v4
	v_add_co_u32 v4, vcc_lo, v0, v2
	s_delay_alu instid0(VALU_DEP_2) | instskip(SKIP_1) | instid1(VALU_DEP_1)
	v_add_nc_u32_e32 v3, v3, v5
	s_wait_alu 0xfffd
	v_add_co_ci_u32_e64 v5, null, v1, v3, vcc_lo
	global_store_b64 v[4:5], v[14:15], off
	global_wb scope:SCOPE_SYS
	s_wait_storecnt 0x0
	global_atomic_cmpswap_b64 v[2:3], v6, v[12:15], s[4:5] offset:32 th:TH_ATOMIC_RETURN scope:SCOPE_SYS
	s_wait_loadcnt 0x0
	v_cmpx_ne_u64_e64 v[2:3], v[14:15]
	s_cbranch_execz .LBB3_418
; %bb.416:
	s_mov_b32 s10, 0
.LBB3_417:                              ; =>This Inner Loop Header: Depth=1
	v_dual_mov_b32 v0, s6 :: v_dual_mov_b32 v1, s7
	s_sleep 1
	global_store_b64 v[4:5], v[2:3], off
	global_wb scope:SCOPE_SYS
	s_wait_storecnt 0x0
	global_atomic_cmpswap_b64 v[0:1], v6, v[0:3], s[4:5] offset:32 th:TH_ATOMIC_RETURN scope:SCOPE_SYS
	s_wait_loadcnt 0x0
	v_cmp_eq_u64_e32 vcc_lo, v[0:1], v[2:3]
	v_dual_mov_b32 v3, v1 :: v_dual_mov_b32 v2, v0
	s_wait_alu 0xfffe
	s_or_b32 s10, vcc_lo, s10
	s_wait_alu 0xfffe
	s_and_not1_b32 exec_lo, exec_lo, s10
	s_cbranch_execnz .LBB3_417
.LBB3_418:
	s_wait_alu 0xfffe
	s_or_b32 exec_lo, exec_lo, s9
	v_mov_b32_e32 v3, 0
	s_mov_b32 s10, exec_lo
	s_mov_b32 s9, exec_lo
	s_wait_alu 0xfffe
	v_mbcnt_lo_u32_b32 v2, s10, 0
	global_load_b64 v[0:1], v3, s[4:5] offset:16
	v_cmpx_eq_u32_e32 0, v2
	s_cbranch_execz .LBB3_420
; %bb.419:
	s_bcnt1_i32_b32 s10, s10
	s_wait_alu 0xfffe
	v_mov_b32_e32 v2, s10
	global_wb scope:SCOPE_SYS
	s_wait_loadcnt 0x0
	s_wait_storecnt 0x0
	global_atomic_add_u64 v[0:1], v[2:3], off offset:8 scope:SCOPE_SYS
.LBB3_420:
	s_or_b32 exec_lo, exec_lo, s9
	s_wait_loadcnt 0x0
	global_load_b64 v[2:3], v[0:1], off offset:16
	s_wait_loadcnt 0x0
	v_cmp_eq_u64_e32 vcc_lo, 0, v[2:3]
	s_cbranch_vccnz .LBB3_422
; %bb.421:
	global_load_b32 v0, v[0:1], off offset:24
	v_mov_b32_e32 v1, 0
	s_wait_loadcnt 0x0
	v_readfirstlane_b32 s9, v0
	global_wb scope:SCOPE_SYS
	s_wait_storecnt 0x0
	global_store_b64 v[2:3], v[0:1], off scope:SCOPE_SYS
	s_and_b32 m0, s9, 0xffffff
	s_sendmsg sendmsg(MSG_INTERRUPT)
.LBB3_422:
	s_wait_alu 0xfffe
	s_or_b32 exec_lo, exec_lo, s8
	s_branch .LBB3_426
.LBB3_423:                              ;   in Loop: Header=BB3_426 Depth=1
	s_wait_alu 0xfffe
	s_or_b32 exec_lo, exec_lo, s8
	s_delay_alu instid0(VALU_DEP_1)
	v_readfirstlane_b32 s8, v0
	s_cmp_eq_u32 s8, 0
	s_cbranch_scc1 .LBB3_425
; %bb.424:                              ;   in Loop: Header=BB3_426 Depth=1
	s_sleep 1
	s_cbranch_execnz .LBB3_426
	s_branch .LBB3_428
.LBB3_425:
	s_branch .LBB3_428
.LBB3_426:                              ; =>This Inner Loop Header: Depth=1
	v_mov_b32_e32 v0, 1
	s_and_saveexec_b32 s8, s3
	s_cbranch_execz .LBB3_423
; %bb.427:                              ;   in Loop: Header=BB3_426 Depth=1
	global_load_b32 v0, v[8:9], off offset:20 scope:SCOPE_SYS
	s_wait_loadcnt 0x0
	global_inv scope:SCOPE_SYS
	v_and_b32_e32 v0, 1, v0
	s_branch .LBB3_423
.LBB3_428:
	global_load_b64 v[0:1], v[10:11], off
	s_and_saveexec_b32 s8, s3
	s_cbranch_execz .LBB3_432
; %bb.429:
	v_mov_b32_e32 v8, 0
	s_clause 0x2
	global_load_b64 v[2:3], v8, s[4:5] offset:40
	global_load_b64 v[11:12], v8, s[4:5] offset:24 scope:SCOPE_SYS
	global_load_b64 v[4:5], v8, s[4:5]
	s_wait_loadcnt 0x2
	v_readfirstlane_b32 s10, v2
	v_readfirstlane_b32 s11, v3
	s_add_nc_u64 s[12:13], s[10:11], 1
	s_wait_alu 0xfffe
	s_add_nc_u64 s[6:7], s[12:13], s[6:7]
	s_wait_alu 0xfffe
	s_cmp_eq_u64 s[6:7], 0
	s_cselect_b32 s7, s13, s7
	s_cselect_b32 s6, s12, s6
	s_wait_alu 0xfffe
	v_mov_b32_e32 v10, s7
	s_and_b64 s[10:11], s[6:7], s[10:11]
	v_mov_b32_e32 v9, s6
	s_wait_alu 0xfffe
	s_mul_u64 s[10:11], s[10:11], 24
	s_wait_loadcnt 0x0
	s_wait_alu 0xfffe
	v_add_co_u32 v6, vcc_lo, v4, s10
	s_wait_alu 0xfffd
	v_add_co_ci_u32_e64 v7, null, s11, v5, vcc_lo
	global_store_b64 v[6:7], v[11:12], off
	global_wb scope:SCOPE_SYS
	s_wait_storecnt 0x0
	global_atomic_cmpswap_b64 v[4:5], v8, v[9:12], s[4:5] offset:24 th:TH_ATOMIC_RETURN scope:SCOPE_SYS
	s_wait_loadcnt 0x0
	v_cmp_ne_u64_e32 vcc_lo, v[4:5], v[11:12]
	s_and_b32 exec_lo, exec_lo, vcc_lo
	s_cbranch_execz .LBB3_432
; %bb.430:
	s_mov_b32 s3, 0
.LBB3_431:                              ; =>This Inner Loop Header: Depth=1
	v_dual_mov_b32 v2, s6 :: v_dual_mov_b32 v3, s7
	s_sleep 1
	global_store_b64 v[6:7], v[4:5], off
	global_wb scope:SCOPE_SYS
	s_wait_storecnt 0x0
	global_atomic_cmpswap_b64 v[2:3], v8, v[2:5], s[4:5] offset:24 th:TH_ATOMIC_RETURN scope:SCOPE_SYS
	s_wait_loadcnt 0x0
	v_cmp_eq_u64_e32 vcc_lo, v[2:3], v[4:5]
	v_dual_mov_b32 v5, v3 :: v_dual_mov_b32 v4, v2
	s_wait_alu 0xfffe
	s_or_b32 s3, vcc_lo, s3
	s_wait_alu 0xfffe
	s_and_not1_b32 exec_lo, exec_lo, s3
	s_cbranch_execnz .LBB3_431
.LBB3_432:
	s_wait_alu 0xfffe
	s_or_b32 exec_lo, exec_lo, s8
	s_getpc_b64 s[6:7]
	s_wait_alu 0xfffe
	s_sext_i32_i16 s7, s7
	s_add_co_u32 s6, s6, .str.9@rel32@lo+12
	s_wait_alu 0xfffe
	s_add_co_ci_u32 s7, s7, .str.9@rel32@hi+24
	s_wait_alu 0xfffe
	s_cmp_lg_u64 s[6:7], 0
	s_cselect_b32 s3, -1, 0
	s_cmp_eq_u64 s[6:7], 0
	s_mov_b64 s[6:7], 0
	s_cbranch_scc1 .LBB3_436
; %bb.433:
	s_getpc_b64 s[6:7]
	s_wait_alu 0xfffe
	s_sext_i32_i16 s7, s7
	s_add_co_u32 s6, s6, .str.9@rel32@lo+11
	s_wait_alu 0xfffe
	s_add_co_ci_u32 s7, s7, .str.9@rel32@hi+23
.LBB3_434:                              ; =>This Inner Loop Header: Depth=1
	s_load_u8 s8, s[6:7], 0x1
	s_add_nc_u64 s[6:7], s[6:7], 1
	s_wait_kmcnt 0x0
	s_cmp_lg_u32 s8, 0
	s_cbranch_scc1 .LBB3_434
; %bb.435:
	s_getpc_b64 s[8:9]
	s_wait_alu 0xfffe
	s_sext_i32_i16 s9, s9
	s_add_co_u32 s8, s8, .str.9@rel32@lo+12
	s_wait_alu 0xfffe
	s_add_co_ci_u32 s9, s9, .str.9@rel32@hi+24
	s_wait_alu 0xfffe
	s_sub_nc_u64 s[6:7], s[6:7], s[8:9]
	s_wait_alu 0xfffe
	s_add_nc_u64 s[6:7], s[6:7], 1
.LBB3_436:
	s_wait_alu 0xfffe
	s_and_b32 vcc_lo, exec_lo, s3
	s_wait_alu 0xfffe
	s_cbranch_vccz .LBB3_515
; %bb.437:
	s_wait_loadcnt 0x0
	v_dual_mov_b32 v7, 0 :: v_dual_and_b32 v34, 2, v0
	v_dual_mov_b32 v3, v1 :: v_dual_and_b32 v2, -3, v0
	v_dual_mov_b32 v8, 2 :: v_dual_mov_b32 v9, 1
	s_getpc_b64 s[8:9]
	s_wait_alu 0xfffe
	s_sext_i32_i16 s9, s9
	s_add_co_u32 s8, s8, .str.9@rel32@lo+12
	s_wait_alu 0xfffe
	s_add_co_ci_u32 s9, s9, .str.9@rel32@hi+24
	s_branch .LBB3_439
.LBB3_438:                              ;   in Loop: Header=BB3_439 Depth=1
	s_wait_alu 0xfffe
	s_or_b32 exec_lo, exec_lo, s14
	s_sub_nc_u64 s[6:7], s[6:7], s[10:11]
	s_add_nc_u64 s[8:9], s[8:9], s[10:11]
	s_wait_alu 0xfffe
	s_cmp_lg_u64 s[6:7], 0
	s_cbranch_scc0 .LBB3_514
.LBB3_439:                              ; =>This Loop Header: Depth=1
                                        ;     Child Loop BB3_442 Depth 2
                                        ;     Child Loop BB3_449 Depth 2
	;; [unrolled: 1-line block ×11, first 2 shown]
	v_cmp_lt_u64_e64 s3, s[6:7], 56
	v_cmp_gt_u64_e64 s12, s[6:7], 7
	s_and_b32 s3, s3, exec_lo
	s_cselect_b32 s11, s7, 0
	s_cselect_b32 s10, s6, 56
	s_and_b32 vcc_lo, exec_lo, s12
	s_wait_alu 0xfffe
	s_cbranch_vccnz .LBB3_444
; %bb.440:                              ;   in Loop: Header=BB3_439 Depth=1
	v_mov_b32_e32 v4, 0
	v_mov_b32_e32 v5, 0
	s_cmp_eq_u64 s[6:7], 0
	s_cbranch_scc1 .LBB3_443
; %bb.441:                              ;   in Loop: Header=BB3_439 Depth=1
	s_mov_b64 s[12:13], 0
	s_mov_b64 s[14:15], 0
.LBB3_442:                              ;   Parent Loop BB3_439 Depth=1
                                        ; =>  This Inner Loop Header: Depth=2
	s_wait_alu 0xfffe
	s_add_nc_u64 s[16:17], s[8:9], s[14:15]
	s_add_nc_u64 s[14:15], s[14:15], 1
	global_load_u8 v6, v7, s[16:17]
	s_wait_alu 0xfffe
	s_cmp_lg_u32 s10, s14
	s_wait_loadcnt 0x0
	v_and_b32_e32 v6, 0xffff, v6
	s_delay_alu instid0(VALU_DEP_1) | instskip(SKIP_1) | instid1(VALU_DEP_1)
	v_lshlrev_b64_e32 v[10:11], s12, v[6:7]
	s_add_nc_u64 s[12:13], s[12:13], 8
	v_or_b32_e32 v4, v10, v4
	s_delay_alu instid0(VALU_DEP_2)
	v_or_b32_e32 v5, v11, v5
	s_cbranch_scc1 .LBB3_442
.LBB3_443:                              ;   in Loop: Header=BB3_439 Depth=1
	s_mov_b64 s[14:15], s[8:9]
	s_mov_b32 s3, 0
	s_cbranch_execz .LBB3_445
	s_branch .LBB3_446
.LBB3_444:                              ;   in Loop: Header=BB3_439 Depth=1
	s_add_nc_u64 s[14:15], s[8:9], 8
	s_mov_b32 s3, 0
.LBB3_445:                              ;   in Loop: Header=BB3_439 Depth=1
	global_load_b64 v[4:5], v7, s[8:9]
	s_add_co_i32 s3, s10, -8
.LBB3_446:                              ;   in Loop: Header=BB3_439 Depth=1
	s_wait_alu 0xfffe
	s_cmp_gt_u32 s3, 7
	s_cbranch_scc1 .LBB3_451
; %bb.447:                              ;   in Loop: Header=BB3_439 Depth=1
	v_mov_b32_e32 v10, 0
	v_mov_b32_e32 v11, 0
	s_cmp_eq_u32 s3, 0
	s_cbranch_scc1 .LBB3_450
; %bb.448:                              ;   in Loop: Header=BB3_439 Depth=1
	s_mov_b64 s[12:13], 0
	s_mov_b64 s[16:17], 0
.LBB3_449:                              ;   Parent Loop BB3_439 Depth=1
                                        ; =>  This Inner Loop Header: Depth=2
	s_wait_alu 0xfffe
	s_add_nc_u64 s[18:19], s[14:15], s[16:17]
	s_add_nc_u64 s[16:17], s[16:17], 1
	global_load_u8 v6, v7, s[18:19]
	s_wait_alu 0xfffe
	s_cmp_lg_u32 s3, s16
	s_wait_loadcnt 0x0
	v_and_b32_e32 v6, 0xffff, v6
	s_delay_alu instid0(VALU_DEP_1) | instskip(SKIP_1) | instid1(VALU_DEP_1)
	v_lshlrev_b64_e32 v[12:13], s12, v[6:7]
	s_add_nc_u64 s[12:13], s[12:13], 8
	v_or_b32_e32 v10, v12, v10
	s_delay_alu instid0(VALU_DEP_2)
	v_or_b32_e32 v11, v13, v11
	s_cbranch_scc1 .LBB3_449
.LBB3_450:                              ;   in Loop: Header=BB3_439 Depth=1
	s_mov_b64 s[12:13], s[14:15]
	s_mov_b32 s18, 0
	s_cbranch_execz .LBB3_452
	s_branch .LBB3_453
.LBB3_451:                              ;   in Loop: Header=BB3_439 Depth=1
	s_add_nc_u64 s[12:13], s[14:15], 8
                                        ; implicit-def: $vgpr10_vgpr11
	s_mov_b32 s18, 0
.LBB3_452:                              ;   in Loop: Header=BB3_439 Depth=1
	global_load_b64 v[10:11], v7, s[14:15]
	s_add_co_i32 s18, s3, -8
.LBB3_453:                              ;   in Loop: Header=BB3_439 Depth=1
	s_wait_alu 0xfffe
	s_cmp_gt_u32 s18, 7
	s_cbranch_scc1 .LBB3_458
; %bb.454:                              ;   in Loop: Header=BB3_439 Depth=1
	v_mov_b32_e32 v12, 0
	v_mov_b32_e32 v13, 0
	s_cmp_eq_u32 s18, 0
	s_cbranch_scc1 .LBB3_457
; %bb.455:                              ;   in Loop: Header=BB3_439 Depth=1
	s_mov_b64 s[14:15], 0
	s_mov_b64 s[16:17], 0
.LBB3_456:                              ;   Parent Loop BB3_439 Depth=1
                                        ; =>  This Inner Loop Header: Depth=2
	s_wait_alu 0xfffe
	s_add_nc_u64 s[22:23], s[12:13], s[16:17]
	s_add_nc_u64 s[16:17], s[16:17], 1
	global_load_u8 v6, v7, s[22:23]
	s_wait_alu 0xfffe
	s_cmp_lg_u32 s18, s16
	s_wait_loadcnt 0x0
	v_and_b32_e32 v6, 0xffff, v6
	s_delay_alu instid0(VALU_DEP_1) | instskip(SKIP_1) | instid1(VALU_DEP_1)
	v_lshlrev_b64_e32 v[14:15], s14, v[6:7]
	s_add_nc_u64 s[14:15], s[14:15], 8
	v_or_b32_e32 v12, v14, v12
	s_delay_alu instid0(VALU_DEP_2)
	v_or_b32_e32 v13, v15, v13
	s_cbranch_scc1 .LBB3_456
.LBB3_457:                              ;   in Loop: Header=BB3_439 Depth=1
	s_mov_b64 s[14:15], s[12:13]
	s_mov_b32 s3, 0
	s_cbranch_execz .LBB3_459
	s_branch .LBB3_460
.LBB3_458:                              ;   in Loop: Header=BB3_439 Depth=1
	s_add_nc_u64 s[14:15], s[12:13], 8
	s_mov_b32 s3, 0
.LBB3_459:                              ;   in Loop: Header=BB3_439 Depth=1
	global_load_b64 v[12:13], v7, s[12:13]
	s_add_co_i32 s3, s18, -8
.LBB3_460:                              ;   in Loop: Header=BB3_439 Depth=1
	s_wait_alu 0xfffe
	s_cmp_gt_u32 s3, 7
	s_cbranch_scc1 .LBB3_465
; %bb.461:                              ;   in Loop: Header=BB3_439 Depth=1
	v_mov_b32_e32 v14, 0
	v_mov_b32_e32 v15, 0
	s_cmp_eq_u32 s3, 0
	s_cbranch_scc1 .LBB3_464
; %bb.462:                              ;   in Loop: Header=BB3_439 Depth=1
	s_mov_b64 s[12:13], 0
	s_mov_b64 s[16:17], 0
.LBB3_463:                              ;   Parent Loop BB3_439 Depth=1
                                        ; =>  This Inner Loop Header: Depth=2
	s_wait_alu 0xfffe
	s_add_nc_u64 s[18:19], s[14:15], s[16:17]
	s_add_nc_u64 s[16:17], s[16:17], 1
	global_load_u8 v6, v7, s[18:19]
	s_wait_alu 0xfffe
	s_cmp_lg_u32 s3, s16
	s_wait_loadcnt 0x0
	v_and_b32_e32 v6, 0xffff, v6
	s_delay_alu instid0(VALU_DEP_1) | instskip(SKIP_1) | instid1(VALU_DEP_1)
	v_lshlrev_b64_e32 v[16:17], s12, v[6:7]
	s_add_nc_u64 s[12:13], s[12:13], 8
	v_or_b32_e32 v14, v16, v14
	s_delay_alu instid0(VALU_DEP_2)
	v_or_b32_e32 v15, v17, v15
	s_cbranch_scc1 .LBB3_463
.LBB3_464:                              ;   in Loop: Header=BB3_439 Depth=1
	s_mov_b64 s[12:13], s[14:15]
	s_mov_b32 s18, 0
	s_cbranch_execz .LBB3_466
	s_branch .LBB3_467
.LBB3_465:                              ;   in Loop: Header=BB3_439 Depth=1
	s_add_nc_u64 s[12:13], s[14:15], 8
                                        ; implicit-def: $vgpr14_vgpr15
	s_mov_b32 s18, 0
.LBB3_466:                              ;   in Loop: Header=BB3_439 Depth=1
	global_load_b64 v[14:15], v7, s[14:15]
	s_add_co_i32 s18, s3, -8
.LBB3_467:                              ;   in Loop: Header=BB3_439 Depth=1
	s_wait_alu 0xfffe
	s_cmp_gt_u32 s18, 7
	s_cbranch_scc1 .LBB3_472
; %bb.468:                              ;   in Loop: Header=BB3_439 Depth=1
	v_mov_b32_e32 v16, 0
	v_mov_b32_e32 v17, 0
	s_cmp_eq_u32 s18, 0
	s_cbranch_scc1 .LBB3_471
; %bb.469:                              ;   in Loop: Header=BB3_439 Depth=1
	s_mov_b64 s[14:15], 0
	s_mov_b64 s[16:17], 0
.LBB3_470:                              ;   Parent Loop BB3_439 Depth=1
                                        ; =>  This Inner Loop Header: Depth=2
	s_wait_alu 0xfffe
	s_add_nc_u64 s[22:23], s[12:13], s[16:17]
	s_add_nc_u64 s[16:17], s[16:17], 1
	global_load_u8 v6, v7, s[22:23]
	s_wait_alu 0xfffe
	s_cmp_lg_u32 s18, s16
	s_wait_loadcnt 0x0
	v_and_b32_e32 v6, 0xffff, v6
	s_delay_alu instid0(VALU_DEP_1) | instskip(SKIP_1) | instid1(VALU_DEP_1)
	v_lshlrev_b64_e32 v[18:19], s14, v[6:7]
	s_add_nc_u64 s[14:15], s[14:15], 8
	v_or_b32_e32 v16, v18, v16
	s_delay_alu instid0(VALU_DEP_2)
	v_or_b32_e32 v17, v19, v17
	s_cbranch_scc1 .LBB3_470
.LBB3_471:                              ;   in Loop: Header=BB3_439 Depth=1
	s_mov_b64 s[14:15], s[12:13]
	s_mov_b32 s3, 0
	s_cbranch_execz .LBB3_473
	s_branch .LBB3_474
.LBB3_472:                              ;   in Loop: Header=BB3_439 Depth=1
	s_add_nc_u64 s[14:15], s[12:13], 8
	s_mov_b32 s3, 0
.LBB3_473:                              ;   in Loop: Header=BB3_439 Depth=1
	global_load_b64 v[16:17], v7, s[12:13]
	s_add_co_i32 s3, s18, -8
.LBB3_474:                              ;   in Loop: Header=BB3_439 Depth=1
	s_wait_alu 0xfffe
	s_cmp_gt_u32 s3, 7
	s_cbranch_scc1 .LBB3_479
; %bb.475:                              ;   in Loop: Header=BB3_439 Depth=1
	v_mov_b32_e32 v18, 0
	v_mov_b32_e32 v19, 0
	s_cmp_eq_u32 s3, 0
	s_cbranch_scc1 .LBB3_478
; %bb.476:                              ;   in Loop: Header=BB3_439 Depth=1
	s_mov_b64 s[12:13], 0
	s_mov_b64 s[16:17], 0
.LBB3_477:                              ;   Parent Loop BB3_439 Depth=1
                                        ; =>  This Inner Loop Header: Depth=2
	s_wait_alu 0xfffe
	s_add_nc_u64 s[18:19], s[14:15], s[16:17]
	s_add_nc_u64 s[16:17], s[16:17], 1
	global_load_u8 v6, v7, s[18:19]
	s_wait_alu 0xfffe
	s_cmp_lg_u32 s3, s16
	s_wait_loadcnt 0x0
	v_and_b32_e32 v6, 0xffff, v6
	s_delay_alu instid0(VALU_DEP_1) | instskip(SKIP_1) | instid1(VALU_DEP_1)
	v_lshlrev_b64_e32 v[20:21], s12, v[6:7]
	s_add_nc_u64 s[12:13], s[12:13], 8
	v_or_b32_e32 v18, v20, v18
	s_delay_alu instid0(VALU_DEP_2)
	v_or_b32_e32 v19, v21, v19
	s_cbranch_scc1 .LBB3_477
.LBB3_478:                              ;   in Loop: Header=BB3_439 Depth=1
	s_mov_b64 s[12:13], s[14:15]
	s_mov_b32 s18, 0
	s_cbranch_execz .LBB3_480
	s_branch .LBB3_481
.LBB3_479:                              ;   in Loop: Header=BB3_439 Depth=1
	s_add_nc_u64 s[12:13], s[14:15], 8
                                        ; implicit-def: $vgpr18_vgpr19
	s_mov_b32 s18, 0
.LBB3_480:                              ;   in Loop: Header=BB3_439 Depth=1
	global_load_b64 v[18:19], v7, s[14:15]
	s_add_co_i32 s18, s3, -8
.LBB3_481:                              ;   in Loop: Header=BB3_439 Depth=1
	s_wait_alu 0xfffe
	s_cmp_gt_u32 s18, 7
	s_cbranch_scc1 .LBB3_486
; %bb.482:                              ;   in Loop: Header=BB3_439 Depth=1
	v_mov_b32_e32 v20, 0
	v_mov_b32_e32 v21, 0
	s_cmp_eq_u32 s18, 0
	s_cbranch_scc1 .LBB3_485
; %bb.483:                              ;   in Loop: Header=BB3_439 Depth=1
	s_mov_b64 s[14:15], 0
	s_mov_b64 s[16:17], s[12:13]
.LBB3_484:                              ;   Parent Loop BB3_439 Depth=1
                                        ; =>  This Inner Loop Header: Depth=2
	global_load_u8 v6, v7, s[16:17]
	s_add_co_i32 s18, s18, -1
	s_wait_alu 0xfffe
	s_add_nc_u64 s[16:17], s[16:17], 1
	s_cmp_lg_u32 s18, 0
	s_wait_loadcnt 0x0
	v_and_b32_e32 v6, 0xffff, v6
	s_delay_alu instid0(VALU_DEP_1) | instskip(SKIP_1) | instid1(VALU_DEP_1)
	v_lshlrev_b64_e32 v[22:23], s14, v[6:7]
	s_add_nc_u64 s[14:15], s[14:15], 8
	v_or_b32_e32 v20, v22, v20
	s_delay_alu instid0(VALU_DEP_2)
	v_or_b32_e32 v21, v23, v21
	s_cbranch_scc1 .LBB3_484
.LBB3_485:                              ;   in Loop: Header=BB3_439 Depth=1
	s_cbranch_execz .LBB3_487
	s_branch .LBB3_488
.LBB3_486:                              ;   in Loop: Header=BB3_439 Depth=1
.LBB3_487:                              ;   in Loop: Header=BB3_439 Depth=1
	global_load_b64 v[20:21], v7, s[12:13]
.LBB3_488:                              ;   in Loop: Header=BB3_439 Depth=1
	v_readfirstlane_b32 s3, v33
	v_mov_b32_e32 v27, 0
	v_mov_b32_e32 v28, 0
	s_wait_alu 0xf1ff
	s_delay_alu instid0(VALU_DEP_3)
	v_cmp_eq_u32_e64 s3, s3, v33
	s_and_saveexec_b32 s12, s3
	s_cbranch_execz .LBB3_494
; %bb.489:                              ;   in Loop: Header=BB3_439 Depth=1
	global_load_b64 v[24:25], v7, s[4:5] offset:24 scope:SCOPE_SYS
	s_wait_loadcnt 0x0
	global_inv scope:SCOPE_SYS
	s_clause 0x1
	global_load_b64 v[22:23], v7, s[4:5] offset:40
	global_load_b64 v[27:28], v7, s[4:5]
	s_mov_b32 s13, exec_lo
	s_wait_loadcnt 0x1
	v_and_b32_e32 v6, v23, v25
	v_and_b32_e32 v22, v22, v24
	s_delay_alu instid0(VALU_DEP_2) | instskip(NEXT) | instid1(VALU_DEP_2)
	v_mul_lo_u32 v6, 24, v6
	v_mul_lo_u32 v23, 0, v22
	v_mul_hi_u32 v29, 24, v22
	v_mul_lo_u32 v22, 24, v22
	s_delay_alu instid0(VALU_DEP_3) | instskip(SKIP_1) | instid1(VALU_DEP_2)
	v_add_nc_u32_e32 v6, v6, v23
	s_wait_loadcnt 0x0
	v_add_co_u32 v22, vcc_lo, v27, v22
	s_delay_alu instid0(VALU_DEP_2) | instskip(SKIP_1) | instid1(VALU_DEP_1)
	v_add_nc_u32_e32 v6, v6, v29
	s_wait_alu 0xfffd
	v_add_co_ci_u32_e64 v23, null, v28, v6, vcc_lo
	global_load_b64 v[22:23], v[22:23], off scope:SCOPE_SYS
	s_wait_loadcnt 0x0
	global_atomic_cmpswap_b64 v[27:28], v7, v[22:25], s[4:5] offset:24 th:TH_ATOMIC_RETURN scope:SCOPE_SYS
	s_wait_loadcnt 0x0
	global_inv scope:SCOPE_SYS
	v_cmpx_ne_u64_e64 v[27:28], v[24:25]
	s_cbranch_execz .LBB3_493
; %bb.490:                              ;   in Loop: Header=BB3_439 Depth=1
	s_mov_b32 s14, 0
.LBB3_491:                              ;   Parent Loop BB3_439 Depth=1
                                        ; =>  This Inner Loop Header: Depth=2
	s_sleep 1
	s_clause 0x1
	global_load_b64 v[22:23], v7, s[4:5] offset:40
	global_load_b64 v[29:30], v7, s[4:5]
	v_dual_mov_b32 v24, v27 :: v_dual_mov_b32 v25, v28
	s_wait_loadcnt 0x1
	s_delay_alu instid0(VALU_DEP_1) | instskip(NEXT) | instid1(VALU_DEP_2)
	v_and_b32_e32 v6, v22, v24
	v_and_b32_e32 v22, v23, v25
	s_wait_loadcnt 0x0
	s_delay_alu instid0(VALU_DEP_2) | instskip(NEXT) | instid1(VALU_DEP_1)
	v_mad_co_u64_u32 v[27:28], null, v6, 24, v[29:30]
	v_mov_b32_e32 v6, v28
	s_delay_alu instid0(VALU_DEP_1) | instskip(NEXT) | instid1(VALU_DEP_1)
	v_mad_co_u64_u32 v[22:23], null, v22, 24, v[6:7]
	v_mov_b32_e32 v28, v22
	global_load_b64 v[22:23], v[27:28], off scope:SCOPE_SYS
	s_wait_loadcnt 0x0
	global_atomic_cmpswap_b64 v[27:28], v7, v[22:25], s[4:5] offset:24 th:TH_ATOMIC_RETURN scope:SCOPE_SYS
	s_wait_loadcnt 0x0
	global_inv scope:SCOPE_SYS
	v_cmp_eq_u64_e32 vcc_lo, v[27:28], v[24:25]
	s_wait_alu 0xfffe
	s_or_b32 s14, vcc_lo, s14
	s_wait_alu 0xfffe
	s_and_not1_b32 exec_lo, exec_lo, s14
	s_cbranch_execnz .LBB3_491
; %bb.492:                              ;   in Loop: Header=BB3_439 Depth=1
	s_or_b32 exec_lo, exec_lo, s14
.LBB3_493:                              ;   in Loop: Header=BB3_439 Depth=1
	s_wait_alu 0xfffe
	s_or_b32 exec_lo, exec_lo, s13
.LBB3_494:                              ;   in Loop: Header=BB3_439 Depth=1
	s_wait_alu 0xfffe
	s_or_b32 exec_lo, exec_lo, s12
	s_clause 0x1
	global_load_b64 v[29:30], v7, s[4:5] offset:40
	global_load_b128 v[22:25], v7, s[4:5]
	v_readfirstlane_b32 s13, v28
	v_readfirstlane_b32 s12, v27
	s_mov_b32 s14, exec_lo
	s_wait_loadcnt 0x1
	s_wait_alu 0xf1ff
	v_and_b32_e32 v30, s13, v30
	v_and_b32_e32 v29, s12, v29
	s_delay_alu instid0(VALU_DEP_2) | instskip(NEXT) | instid1(VALU_DEP_2)
	v_mul_lo_u32 v6, 24, v30
	v_mul_lo_u32 v27, 0, v29
	v_mul_hi_u32 v28, 24, v29
	v_mul_lo_u32 v35, 24, v29
	s_delay_alu instid0(VALU_DEP_3) | instskip(SKIP_1) | instid1(VALU_DEP_2)
	v_add_nc_u32_e32 v6, v6, v27
	s_wait_loadcnt 0x0
	v_add_co_u32 v27, vcc_lo, v22, v35
	s_delay_alu instid0(VALU_DEP_2) | instskip(SKIP_1) | instid1(VALU_DEP_1)
	v_add_nc_u32_e32 v6, v6, v28
	s_wait_alu 0xfffd
	v_add_co_ci_u32_e64 v28, null, v23, v6, vcc_lo
	s_and_saveexec_b32 s15, s3
	s_cbranch_execz .LBB3_496
; %bb.495:                              ;   in Loop: Header=BB3_439 Depth=1
	s_wait_alu 0xfffe
	v_mov_b32_e32 v6, s14
	global_store_b128 v[27:28], v[6:9], off offset:8
.LBB3_496:                              ;   in Loop: Header=BB3_439 Depth=1
	s_wait_alu 0xfffe
	s_or_b32 exec_lo, exec_lo, s15
	v_cmp_lt_u64_e64 vcc_lo, s[6:7], 57
	v_lshlrev_b64_e32 v[29:30], 12, v[29:30]
	v_and_b32_e32 v2, 0xffffff1f, v2
	s_lshl_b32 s14, s10, 2
	s_wait_alu 0xfffe
	s_add_co_i32 s14, s14, 28
	s_wait_alu 0xfffd
	v_cndmask_b32_e32 v6, 0, v34, vcc_lo
	v_add_co_u32 v24, vcc_lo, v24, v29
	s_wait_alu 0xfffd
	v_add_co_ci_u32_e64 v25, null, v25, v30, vcc_lo
	s_delay_alu instid0(VALU_DEP_3) | instskip(NEXT) | instid1(VALU_DEP_2)
	v_or_b32_e32 v2, v2, v6
	v_readfirstlane_b32 s15, v25
	s_wait_alu 0xfffe
	s_delay_alu instid0(VALU_DEP_2)
	v_and_or_b32 v2, 0x1e0, s14, v2
	v_readfirstlane_b32 s14, v24
	s_clause 0x3
	global_store_b128 v32, v[2:5], s[14:15]
	global_store_b128 v32, v[10:13], s[14:15] offset:16
	global_store_b128 v32, v[14:17], s[14:15] offset:32
	;; [unrolled: 1-line block ×3, first 2 shown]
	s_and_saveexec_b32 s14, s3
	s_cbranch_execz .LBB3_504
; %bb.497:                              ;   in Loop: Header=BB3_439 Depth=1
	s_clause 0x1
	global_load_b64 v[14:15], v7, s[4:5] offset:32 scope:SCOPE_SYS
	global_load_b64 v[2:3], v7, s[4:5] offset:40
	s_mov_b32 s15, exec_lo
	v_dual_mov_b32 v12, s12 :: v_dual_mov_b32 v13, s13
	s_wait_loadcnt 0x0
	v_and_b32_e32 v2, s12, v2
	v_and_b32_e32 v3, s13, v3
	s_delay_alu instid0(VALU_DEP_2) | instskip(NEXT) | instid1(VALU_DEP_2)
	v_mul_lo_u32 v4, 0, v2
	v_mul_lo_u32 v3, 24, v3
	v_mul_hi_u32 v5, 24, v2
	v_mul_lo_u32 v2, 24, v2
	s_delay_alu instid0(VALU_DEP_3) | instskip(NEXT) | instid1(VALU_DEP_2)
	v_add_nc_u32_e32 v3, v3, v4
	v_add_co_u32 v10, vcc_lo, v22, v2
	s_delay_alu instid0(VALU_DEP_2) | instskip(SKIP_1) | instid1(VALU_DEP_1)
	v_add_nc_u32_e32 v3, v3, v5
	s_wait_alu 0xfffd
	v_add_co_ci_u32_e64 v11, null, v23, v3, vcc_lo
	global_store_b64 v[10:11], v[14:15], off
	global_wb scope:SCOPE_SYS
	s_wait_storecnt 0x0
	global_atomic_cmpswap_b64 v[4:5], v7, v[12:15], s[4:5] offset:32 th:TH_ATOMIC_RETURN scope:SCOPE_SYS
	s_wait_loadcnt 0x0
	v_cmpx_ne_u64_e64 v[4:5], v[14:15]
	s_cbranch_execz .LBB3_500
; %bb.498:                              ;   in Loop: Header=BB3_439 Depth=1
	s_mov_b32 s16, 0
.LBB3_499:                              ;   Parent Loop BB3_439 Depth=1
                                        ; =>  This Inner Loop Header: Depth=2
	v_dual_mov_b32 v2, s12 :: v_dual_mov_b32 v3, s13
	s_sleep 1
	global_store_b64 v[10:11], v[4:5], off
	global_wb scope:SCOPE_SYS
	s_wait_storecnt 0x0
	global_atomic_cmpswap_b64 v[2:3], v7, v[2:5], s[4:5] offset:32 th:TH_ATOMIC_RETURN scope:SCOPE_SYS
	s_wait_loadcnt 0x0
	v_cmp_eq_u64_e32 vcc_lo, v[2:3], v[4:5]
	v_dual_mov_b32 v5, v3 :: v_dual_mov_b32 v4, v2
	s_wait_alu 0xfffe
	s_or_b32 s16, vcc_lo, s16
	s_wait_alu 0xfffe
	s_and_not1_b32 exec_lo, exec_lo, s16
	s_cbranch_execnz .LBB3_499
.LBB3_500:                              ;   in Loop: Header=BB3_439 Depth=1
	s_wait_alu 0xfffe
	s_or_b32 exec_lo, exec_lo, s15
	global_load_b64 v[2:3], v7, s[4:5] offset:16
	s_mov_b32 s16, exec_lo
	s_mov_b32 s15, exec_lo
	s_wait_alu 0xfffe
	v_mbcnt_lo_u32_b32 v4, s16, 0
	s_delay_alu instid0(VALU_DEP_1)
	v_cmpx_eq_u32_e32 0, v4
	s_cbranch_execz .LBB3_502
; %bb.501:                              ;   in Loop: Header=BB3_439 Depth=1
	s_bcnt1_i32_b32 s16, s16
	s_wait_alu 0xfffe
	v_mov_b32_e32 v6, s16
	global_wb scope:SCOPE_SYS
	s_wait_loadcnt 0x0
	s_wait_storecnt 0x0
	global_atomic_add_u64 v[2:3], v[6:7], off offset:8 scope:SCOPE_SYS
.LBB3_502:                              ;   in Loop: Header=BB3_439 Depth=1
	s_or_b32 exec_lo, exec_lo, s15
	s_wait_loadcnt 0x0
	global_load_b64 v[4:5], v[2:3], off offset:16
	s_wait_loadcnt 0x0
	v_cmp_eq_u64_e32 vcc_lo, 0, v[4:5]
	s_cbranch_vccnz .LBB3_504
; %bb.503:                              ;   in Loop: Header=BB3_439 Depth=1
	global_load_b32 v6, v[2:3], off offset:24
	s_wait_loadcnt 0x0
	v_readfirstlane_b32 s15, v6
	global_wb scope:SCOPE_SYS
	s_wait_storecnt 0x0
	global_store_b64 v[4:5], v[6:7], off scope:SCOPE_SYS
	s_and_b32 m0, s15, 0xffffff
	s_sendmsg sendmsg(MSG_INTERRUPT)
.LBB3_504:                              ;   in Loop: Header=BB3_439 Depth=1
	s_wait_alu 0xfffe
	s_or_b32 exec_lo, exec_lo, s14
	v_add_co_u32 v2, vcc_lo, v24, v32
	s_wait_alu 0xfffd
	v_add_co_ci_u32_e64 v3, null, 0, v25, vcc_lo
	s_branch .LBB3_508
.LBB3_505:                              ;   in Loop: Header=BB3_508 Depth=2
	s_wait_alu 0xfffe
	s_or_b32 exec_lo, exec_lo, s14
	s_delay_alu instid0(VALU_DEP_1)
	v_readfirstlane_b32 s14, v4
	s_cmp_eq_u32 s14, 0
	s_cbranch_scc1 .LBB3_507
; %bb.506:                              ;   in Loop: Header=BB3_508 Depth=2
	s_sleep 1
	s_cbranch_execnz .LBB3_508
	s_branch .LBB3_510
.LBB3_507:                              ;   in Loop: Header=BB3_439 Depth=1
	s_branch .LBB3_510
.LBB3_508:                              ;   Parent Loop BB3_439 Depth=1
                                        ; =>  This Inner Loop Header: Depth=2
	v_mov_b32_e32 v4, 1
	s_and_saveexec_b32 s14, s3
	s_cbranch_execz .LBB3_505
; %bb.509:                              ;   in Loop: Header=BB3_508 Depth=2
	global_load_b32 v4, v[27:28], off offset:20 scope:SCOPE_SYS
	s_wait_loadcnt 0x0
	global_inv scope:SCOPE_SYS
	v_and_b32_e32 v4, 1, v4
	s_branch .LBB3_505
.LBB3_510:                              ;   in Loop: Header=BB3_439 Depth=1
	global_load_b64 v[2:3], v[2:3], off
	s_and_saveexec_b32 s14, s3
	s_cbranch_execz .LBB3_438
; %bb.511:                              ;   in Loop: Header=BB3_439 Depth=1
	s_clause 0x2
	global_load_b64 v[4:5], v7, s[4:5] offset:40
	global_load_b64 v[14:15], v7, s[4:5] offset:24 scope:SCOPE_SYS
	global_load_b64 v[10:11], v7, s[4:5]
	s_wait_loadcnt 0x2
	v_readfirstlane_b32 s16, v4
	v_readfirstlane_b32 s17, v5
	s_add_nc_u64 s[18:19], s[16:17], 1
	s_wait_alu 0xfffe
	s_add_nc_u64 s[12:13], s[18:19], s[12:13]
	s_wait_alu 0xfffe
	s_cmp_eq_u64 s[12:13], 0
	s_cselect_b32 s13, s19, s13
	s_cselect_b32 s12, s18, s12
	s_wait_alu 0xfffe
	v_dual_mov_b32 v13, s13 :: v_dual_mov_b32 v12, s12
	s_and_b64 s[16:17], s[12:13], s[16:17]
	s_wait_alu 0xfffe
	s_mul_u64 s[16:17], s[16:17], 24
	s_wait_loadcnt 0x0
	s_wait_alu 0xfffe
	v_add_co_u32 v4, vcc_lo, v10, s16
	s_wait_alu 0xfffd
	v_add_co_ci_u32_e64 v5, null, s17, v11, vcc_lo
	global_store_b64 v[4:5], v[14:15], off
	global_wb scope:SCOPE_SYS
	s_wait_storecnt 0x0
	global_atomic_cmpswap_b64 v[12:13], v7, v[12:15], s[4:5] offset:24 th:TH_ATOMIC_RETURN scope:SCOPE_SYS
	s_wait_loadcnt 0x0
	v_cmp_ne_u64_e32 vcc_lo, v[12:13], v[14:15]
	s_and_b32 exec_lo, exec_lo, vcc_lo
	s_cbranch_execz .LBB3_438
; %bb.512:                              ;   in Loop: Header=BB3_439 Depth=1
	s_mov_b32 s3, 0
.LBB3_513:                              ;   Parent Loop BB3_439 Depth=1
                                        ; =>  This Inner Loop Header: Depth=2
	v_dual_mov_b32 v10, s12 :: v_dual_mov_b32 v11, s13
	s_sleep 1
	global_store_b64 v[4:5], v[12:13], off
	global_wb scope:SCOPE_SYS
	s_wait_storecnt 0x0
	global_atomic_cmpswap_b64 v[10:11], v7, v[10:13], s[4:5] offset:24 th:TH_ATOMIC_RETURN scope:SCOPE_SYS
	s_wait_loadcnt 0x0
	v_cmp_eq_u64_e32 vcc_lo, v[10:11], v[12:13]
	v_dual_mov_b32 v13, v11 :: v_dual_mov_b32 v12, v10
	s_wait_alu 0xfffe
	s_or_b32 s3, vcc_lo, s3
	s_wait_alu 0xfffe
	s_and_not1_b32 exec_lo, exec_lo, s3
	s_cbranch_execnz .LBB3_513
	s_branch .LBB3_438
.LBB3_514:
	s_branch .LBB3_543
.LBB3_515:
                                        ; implicit-def: $vgpr2_vgpr3
	s_cbranch_execz .LBB3_543
; %bb.516:
	v_readfirstlane_b32 s3, v33
	v_mov_b32_e32 v8, 0
	v_mov_b32_e32 v9, 0
	s_wait_alu 0xf1ff
	s_delay_alu instid0(VALU_DEP_3)
	v_cmp_eq_u32_e64 s3, s3, v33
	s_and_saveexec_b32 s6, s3
	s_cbranch_execz .LBB3_522
; %bb.517:
	s_wait_loadcnt 0x0
	v_mov_b32_e32 v2, 0
	s_mov_b32 s7, exec_lo
	global_load_b64 v[5:6], v2, s[4:5] offset:24 scope:SCOPE_SYS
	s_wait_loadcnt 0x0
	global_inv scope:SCOPE_SYS
	s_clause 0x1
	global_load_b64 v[3:4], v2, s[4:5] offset:40
	global_load_b64 v[7:8], v2, s[4:5]
	s_wait_loadcnt 0x1
	v_and_b32_e32 v4, v4, v6
	v_and_b32_e32 v3, v3, v5
	s_delay_alu instid0(VALU_DEP_2) | instskip(NEXT) | instid1(VALU_DEP_2)
	v_mul_lo_u32 v4, 24, v4
	v_mul_lo_u32 v9, 0, v3
	v_mul_hi_u32 v10, 24, v3
	v_mul_lo_u32 v3, 24, v3
	s_delay_alu instid0(VALU_DEP_3) | instskip(SKIP_1) | instid1(VALU_DEP_2)
	v_add_nc_u32_e32 v4, v4, v9
	s_wait_loadcnt 0x0
	v_add_co_u32 v3, vcc_lo, v7, v3
	s_delay_alu instid0(VALU_DEP_2) | instskip(SKIP_1) | instid1(VALU_DEP_1)
	v_add_nc_u32_e32 v4, v4, v10
	s_wait_alu 0xfffd
	v_add_co_ci_u32_e64 v4, null, v8, v4, vcc_lo
	global_load_b64 v[3:4], v[3:4], off scope:SCOPE_SYS
	s_wait_loadcnt 0x0
	global_atomic_cmpswap_b64 v[8:9], v2, v[3:6], s[4:5] offset:24 th:TH_ATOMIC_RETURN scope:SCOPE_SYS
	s_wait_loadcnt 0x0
	global_inv scope:SCOPE_SYS
	v_cmpx_ne_u64_e64 v[8:9], v[5:6]
	s_cbranch_execz .LBB3_521
; %bb.518:
	s_mov_b32 s8, 0
.LBB3_519:                              ; =>This Inner Loop Header: Depth=1
	s_sleep 1
	s_clause 0x1
	global_load_b64 v[3:4], v2, s[4:5] offset:40
	global_load_b64 v[10:11], v2, s[4:5]
	v_dual_mov_b32 v5, v8 :: v_dual_mov_b32 v6, v9
	s_wait_loadcnt 0x1
	s_delay_alu instid0(VALU_DEP_1) | instskip(NEXT) | instid1(VALU_DEP_2)
	v_and_b32_e32 v3, v3, v5
	v_and_b32_e32 v4, v4, v6
	s_wait_loadcnt 0x0
	s_delay_alu instid0(VALU_DEP_2) | instskip(NEXT) | instid1(VALU_DEP_1)
	v_mad_co_u64_u32 v[7:8], null, v3, 24, v[10:11]
	v_mov_b32_e32 v3, v8
	s_delay_alu instid0(VALU_DEP_1) | instskip(NEXT) | instid1(VALU_DEP_1)
	v_mad_co_u64_u32 v[3:4], null, v4, 24, v[3:4]
	v_mov_b32_e32 v8, v3
	global_load_b64 v[3:4], v[7:8], off scope:SCOPE_SYS
	s_wait_loadcnt 0x0
	global_atomic_cmpswap_b64 v[8:9], v2, v[3:6], s[4:5] offset:24 th:TH_ATOMIC_RETURN scope:SCOPE_SYS
	s_wait_loadcnt 0x0
	global_inv scope:SCOPE_SYS
	v_cmp_eq_u64_e32 vcc_lo, v[8:9], v[5:6]
	s_wait_alu 0xfffe
	s_or_b32 s8, vcc_lo, s8
	s_wait_alu 0xfffe
	s_and_not1_b32 exec_lo, exec_lo, s8
	s_cbranch_execnz .LBB3_519
; %bb.520:
	s_or_b32 exec_lo, exec_lo, s8
.LBB3_521:
	s_wait_alu 0xfffe
	s_or_b32 exec_lo, exec_lo, s7
.LBB3_522:
	s_wait_alu 0xfffe
	s_or_b32 exec_lo, exec_lo, s6
	v_readfirstlane_b32 s7, v9
	s_wait_loadcnt 0x0
	v_mov_b32_e32 v2, 0
	v_readfirstlane_b32 s6, v8
	s_mov_b32 s8, exec_lo
	s_clause 0x1
	global_load_b64 v[10:11], v2, s[4:5] offset:40
	global_load_b128 v[4:7], v2, s[4:5]
	s_wait_loadcnt 0x1
	s_wait_alu 0xf1ff
	v_and_b32_e32 v11, s7, v11
	v_and_b32_e32 v10, s6, v10
	s_delay_alu instid0(VALU_DEP_2) | instskip(NEXT) | instid1(VALU_DEP_2)
	v_mul_lo_u32 v3, 24, v11
	v_mul_lo_u32 v8, 0, v10
	v_mul_hi_u32 v9, 24, v10
	v_mul_lo_u32 v12, 24, v10
	s_delay_alu instid0(VALU_DEP_3) | instskip(SKIP_1) | instid1(VALU_DEP_2)
	v_add_nc_u32_e32 v3, v3, v8
	s_wait_loadcnt 0x0
	v_add_co_u32 v8, vcc_lo, v4, v12
	s_delay_alu instid0(VALU_DEP_2) | instskip(SKIP_1) | instid1(VALU_DEP_1)
	v_add_nc_u32_e32 v3, v3, v9
	s_wait_alu 0xfffd
	v_add_co_ci_u32_e64 v9, null, v5, v3, vcc_lo
	s_and_saveexec_b32 s9, s3
	s_cbranch_execz .LBB3_524
; %bb.523:
	s_wait_alu 0xfffe
	v_dual_mov_b32 v12, s8 :: v_dual_mov_b32 v13, v2
	v_dual_mov_b32 v14, 2 :: v_dual_mov_b32 v15, 1
	global_store_b128 v[8:9], v[12:15], off offset:8
.LBB3_524:
	s_wait_alu 0xfffe
	s_or_b32 exec_lo, exec_lo, s9
	v_lshlrev_b64_e32 v[10:11], 12, v[10:11]
	s_mov_b32 s8, 0
	v_and_or_b32 v0, 0xffffff1f, v0, 32
	s_wait_alu 0xfffe
	s_mov_b32 s11, s8
	s_mov_b32 s9, s8
	;; [unrolled: 1-line block ×3, first 2 shown]
	v_add_co_u32 v6, vcc_lo, v6, v10
	s_wait_alu 0xfffd
	v_add_co_ci_u32_e64 v7, null, v7, v11, vcc_lo
	v_mov_b32_e32 v3, v2
	s_delay_alu instid0(VALU_DEP_3) | instskip(SKIP_1) | instid1(VALU_DEP_4)
	v_readfirstlane_b32 s12, v6
	v_add_co_u32 v6, vcc_lo, v6, v32
	v_readfirstlane_b32 s13, v7
	s_wait_alu 0xfffe
	v_dual_mov_b32 v13, s11 :: v_dual_mov_b32 v10, s8
	s_wait_alu 0xfffd
	v_add_co_ci_u32_e64 v7, null, 0, v7, vcc_lo
	v_dual_mov_b32 v12, s10 :: v_dual_mov_b32 v11, s9
	s_clause 0x3
	global_store_b128 v32, v[0:3], s[12:13]
	global_store_b128 v32, v[10:13], s[12:13] offset:16
	global_store_b128 v32, v[10:13], s[12:13] offset:32
	;; [unrolled: 1-line block ×3, first 2 shown]
	s_and_saveexec_b32 s8, s3
	s_cbranch_execz .LBB3_532
; %bb.525:
	v_mov_b32_e32 v10, 0
	s_mov_b32 s9, exec_lo
	s_clause 0x1
	global_load_b64 v[13:14], v10, s[4:5] offset:32 scope:SCOPE_SYS
	global_load_b64 v[0:1], v10, s[4:5] offset:40
	v_dual_mov_b32 v11, s6 :: v_dual_mov_b32 v12, s7
	s_wait_loadcnt 0x0
	v_and_b32_e32 v1, s7, v1
	v_and_b32_e32 v0, s6, v0
	s_delay_alu instid0(VALU_DEP_2) | instskip(NEXT) | instid1(VALU_DEP_2)
	v_mul_lo_u32 v1, 24, v1
	v_mul_lo_u32 v2, 0, v0
	v_mul_hi_u32 v3, 24, v0
	v_mul_lo_u32 v0, 24, v0
	s_delay_alu instid0(VALU_DEP_3) | instskip(NEXT) | instid1(VALU_DEP_2)
	v_add_nc_u32_e32 v1, v1, v2
	v_add_co_u32 v4, vcc_lo, v4, v0
	s_delay_alu instid0(VALU_DEP_2) | instskip(SKIP_1) | instid1(VALU_DEP_1)
	v_add_nc_u32_e32 v1, v1, v3
	s_wait_alu 0xfffd
	v_add_co_ci_u32_e64 v5, null, v5, v1, vcc_lo
	global_store_b64 v[4:5], v[13:14], off
	global_wb scope:SCOPE_SYS
	s_wait_storecnt 0x0
	global_atomic_cmpswap_b64 v[2:3], v10, v[11:14], s[4:5] offset:32 th:TH_ATOMIC_RETURN scope:SCOPE_SYS
	s_wait_loadcnt 0x0
	v_cmpx_ne_u64_e64 v[2:3], v[13:14]
	s_cbranch_execz .LBB3_528
; %bb.526:
	s_mov_b32 s10, 0
.LBB3_527:                              ; =>This Inner Loop Header: Depth=1
	v_dual_mov_b32 v0, s6 :: v_dual_mov_b32 v1, s7
	s_sleep 1
	global_store_b64 v[4:5], v[2:3], off
	global_wb scope:SCOPE_SYS
	s_wait_storecnt 0x0
	global_atomic_cmpswap_b64 v[0:1], v10, v[0:3], s[4:5] offset:32 th:TH_ATOMIC_RETURN scope:SCOPE_SYS
	s_wait_loadcnt 0x0
	v_cmp_eq_u64_e32 vcc_lo, v[0:1], v[2:3]
	v_dual_mov_b32 v3, v1 :: v_dual_mov_b32 v2, v0
	s_wait_alu 0xfffe
	s_or_b32 s10, vcc_lo, s10
	s_wait_alu 0xfffe
	s_and_not1_b32 exec_lo, exec_lo, s10
	s_cbranch_execnz .LBB3_527
.LBB3_528:
	s_wait_alu 0xfffe
	s_or_b32 exec_lo, exec_lo, s9
	v_mov_b32_e32 v3, 0
	s_mov_b32 s10, exec_lo
	s_mov_b32 s9, exec_lo
	s_wait_alu 0xfffe
	v_mbcnt_lo_u32_b32 v2, s10, 0
	global_load_b64 v[0:1], v3, s[4:5] offset:16
	v_cmpx_eq_u32_e32 0, v2
	s_cbranch_execz .LBB3_530
; %bb.529:
	s_bcnt1_i32_b32 s10, s10
	s_wait_alu 0xfffe
	v_mov_b32_e32 v2, s10
	global_wb scope:SCOPE_SYS
	s_wait_loadcnt 0x0
	s_wait_storecnt 0x0
	global_atomic_add_u64 v[0:1], v[2:3], off offset:8 scope:SCOPE_SYS
.LBB3_530:
	s_or_b32 exec_lo, exec_lo, s9
	s_wait_loadcnt 0x0
	global_load_b64 v[2:3], v[0:1], off offset:16
	s_wait_loadcnt 0x0
	v_cmp_eq_u64_e32 vcc_lo, 0, v[2:3]
	s_cbranch_vccnz .LBB3_532
; %bb.531:
	global_load_b32 v0, v[0:1], off offset:24
	v_mov_b32_e32 v1, 0
	s_wait_loadcnt 0x0
	v_readfirstlane_b32 s9, v0
	global_wb scope:SCOPE_SYS
	s_wait_storecnt 0x0
	global_store_b64 v[2:3], v[0:1], off scope:SCOPE_SYS
	s_and_b32 m0, s9, 0xffffff
	s_sendmsg sendmsg(MSG_INTERRUPT)
.LBB3_532:
	s_wait_alu 0xfffe
	s_or_b32 exec_lo, exec_lo, s8
	s_branch .LBB3_536
.LBB3_533:                              ;   in Loop: Header=BB3_536 Depth=1
	s_wait_alu 0xfffe
	s_or_b32 exec_lo, exec_lo, s8
	s_delay_alu instid0(VALU_DEP_1)
	v_readfirstlane_b32 s8, v0
	s_cmp_eq_u32 s8, 0
	s_cbranch_scc1 .LBB3_535
; %bb.534:                              ;   in Loop: Header=BB3_536 Depth=1
	s_sleep 1
	s_cbranch_execnz .LBB3_536
	s_branch .LBB3_538
.LBB3_535:
	s_branch .LBB3_538
.LBB3_536:                              ; =>This Inner Loop Header: Depth=1
	v_mov_b32_e32 v0, 1
	s_and_saveexec_b32 s8, s3
	s_cbranch_execz .LBB3_533
; %bb.537:                              ;   in Loop: Header=BB3_536 Depth=1
	global_load_b32 v0, v[8:9], off offset:20 scope:SCOPE_SYS
	s_wait_loadcnt 0x0
	global_inv scope:SCOPE_SYS
	v_and_b32_e32 v0, 1, v0
	s_branch .LBB3_533
.LBB3_538:
	global_load_b64 v[2:3], v[6:7], off
	s_and_saveexec_b32 s8, s3
	s_cbranch_execz .LBB3_542
; %bb.539:
	v_mov_b32_e32 v8, 0
	s_clause 0x2
	global_load_b64 v[0:1], v8, s[4:5] offset:40
	global_load_b64 v[11:12], v8, s[4:5] offset:24 scope:SCOPE_SYS
	global_load_b64 v[4:5], v8, s[4:5]
	s_wait_loadcnt 0x2
	v_readfirstlane_b32 s10, v0
	v_readfirstlane_b32 s11, v1
	s_add_nc_u64 s[12:13], s[10:11], 1
	s_wait_alu 0xfffe
	s_add_nc_u64 s[6:7], s[12:13], s[6:7]
	s_wait_alu 0xfffe
	s_cmp_eq_u64 s[6:7], 0
	s_cselect_b32 s7, s13, s7
	s_cselect_b32 s6, s12, s6
	s_wait_alu 0xfffe
	v_mov_b32_e32 v10, s7
	s_and_b64 s[10:11], s[6:7], s[10:11]
	v_mov_b32_e32 v9, s6
	s_wait_alu 0xfffe
	s_mul_u64 s[10:11], s[10:11], 24
	s_wait_loadcnt 0x0
	s_wait_alu 0xfffe
	v_add_co_u32 v0, vcc_lo, v4, s10
	s_wait_alu 0xfffd
	v_add_co_ci_u32_e64 v1, null, s11, v5, vcc_lo
	global_store_b64 v[0:1], v[11:12], off
	global_wb scope:SCOPE_SYS
	s_wait_storecnt 0x0
	global_atomic_cmpswap_b64 v[6:7], v8, v[9:12], s[4:5] offset:24 th:TH_ATOMIC_RETURN scope:SCOPE_SYS
	s_wait_loadcnt 0x0
	v_cmp_ne_u64_e32 vcc_lo, v[6:7], v[11:12]
	s_and_b32 exec_lo, exec_lo, vcc_lo
	s_cbranch_execz .LBB3_542
; %bb.540:
	s_mov_b32 s3, 0
.LBB3_541:                              ; =>This Inner Loop Header: Depth=1
	v_dual_mov_b32 v4, s6 :: v_dual_mov_b32 v5, s7
	s_sleep 1
	global_store_b64 v[0:1], v[6:7], off
	global_wb scope:SCOPE_SYS
	s_wait_storecnt 0x0
	global_atomic_cmpswap_b64 v[4:5], v8, v[4:7], s[4:5] offset:24 th:TH_ATOMIC_RETURN scope:SCOPE_SYS
	s_wait_loadcnt 0x0
	v_cmp_eq_u64_e32 vcc_lo, v[4:5], v[6:7]
	v_dual_mov_b32 v7, v5 :: v_dual_mov_b32 v6, v4
	s_wait_alu 0xfffe
	s_or_b32 s3, vcc_lo, s3
	s_wait_alu 0xfffe
	s_and_not1_b32 exec_lo, exec_lo, s3
	s_cbranch_execnz .LBB3_541
.LBB3_542:
	s_wait_alu 0xfffe
	s_or_b32 exec_lo, exec_lo, s8
.LBB3_543:
	v_readfirstlane_b32 s3, v33
	s_wait_loadcnt 0x0
	v_mov_b32_e32 v0, 0
	v_mov_b32_e32 v1, 0
	s_wait_alu 0xf1ff
	v_cmp_eq_u32_e64 s3, s3, v33
	s_and_saveexec_b32 s6, s3
	s_cbranch_execz .LBB3_549
; %bb.544:
	v_mov_b32_e32 v4, 0
	s_mov_b32 s7, exec_lo
	global_load_b64 v[7:8], v4, s[4:5] offset:24 scope:SCOPE_SYS
	s_wait_loadcnt 0x0
	global_inv scope:SCOPE_SYS
	s_clause 0x1
	global_load_b64 v[0:1], v4, s[4:5] offset:40
	global_load_b64 v[5:6], v4, s[4:5]
	s_wait_loadcnt 0x1
	v_and_b32_e32 v1, v1, v8
	v_and_b32_e32 v0, v0, v7
	s_delay_alu instid0(VALU_DEP_2) | instskip(NEXT) | instid1(VALU_DEP_2)
	v_mul_lo_u32 v1, 24, v1
	v_mul_lo_u32 v9, 0, v0
	v_mul_hi_u32 v10, 24, v0
	v_mul_lo_u32 v0, 24, v0
	s_delay_alu instid0(VALU_DEP_3) | instskip(SKIP_1) | instid1(VALU_DEP_2)
	v_add_nc_u32_e32 v1, v1, v9
	s_wait_loadcnt 0x0
	v_add_co_u32 v0, vcc_lo, v5, v0
	s_delay_alu instid0(VALU_DEP_2) | instskip(SKIP_1) | instid1(VALU_DEP_1)
	v_add_nc_u32_e32 v1, v1, v10
	s_wait_alu 0xfffd
	v_add_co_ci_u32_e64 v1, null, v6, v1, vcc_lo
	global_load_b64 v[5:6], v[0:1], off scope:SCOPE_SYS
	s_wait_loadcnt 0x0
	global_atomic_cmpswap_b64 v[0:1], v4, v[5:8], s[4:5] offset:24 th:TH_ATOMIC_RETURN scope:SCOPE_SYS
	s_wait_loadcnt 0x0
	global_inv scope:SCOPE_SYS
	v_cmpx_ne_u64_e64 v[0:1], v[7:8]
	s_cbranch_execz .LBB3_548
; %bb.545:
	s_mov_b32 s8, 0
.LBB3_546:                              ; =>This Inner Loop Header: Depth=1
	s_sleep 1
	s_clause 0x1
	global_load_b64 v[5:6], v4, s[4:5] offset:40
	global_load_b64 v[9:10], v4, s[4:5]
	v_dual_mov_b32 v8, v1 :: v_dual_mov_b32 v7, v0
	s_wait_loadcnt 0x1
	s_delay_alu instid0(VALU_DEP_1) | instskip(NEXT) | instid1(VALU_DEP_2)
	v_and_b32_e32 v0, v5, v7
	v_and_b32_e32 v5, v6, v8
	s_wait_loadcnt 0x0
	s_delay_alu instid0(VALU_DEP_2) | instskip(NEXT) | instid1(VALU_DEP_1)
	v_mad_co_u64_u32 v[0:1], null, v0, 24, v[9:10]
	v_mad_co_u64_u32 v[5:6], null, v5, 24, v[1:2]
	s_delay_alu instid0(VALU_DEP_1)
	v_mov_b32_e32 v1, v5
	global_load_b64 v[5:6], v[0:1], off scope:SCOPE_SYS
	s_wait_loadcnt 0x0
	global_atomic_cmpswap_b64 v[0:1], v4, v[5:8], s[4:5] offset:24 th:TH_ATOMIC_RETURN scope:SCOPE_SYS
	s_wait_loadcnt 0x0
	global_inv scope:SCOPE_SYS
	v_cmp_eq_u64_e32 vcc_lo, v[0:1], v[7:8]
	s_wait_alu 0xfffe
	s_or_b32 s8, vcc_lo, s8
	s_wait_alu 0xfffe
	s_and_not1_b32 exec_lo, exec_lo, s8
	s_cbranch_execnz .LBB3_546
; %bb.547:
	s_or_b32 exec_lo, exec_lo, s8
.LBB3_548:
	s_wait_alu 0xfffe
	s_or_b32 exec_lo, exec_lo, s7
.LBB3_549:
	s_wait_alu 0xfffe
	s_or_b32 exec_lo, exec_lo, s6
	v_readfirstlane_b32 s6, v0
	v_mov_b32_e32 v5, 0
	v_readfirstlane_b32 s7, v1
	s_mov_b32 s8, exec_lo
	s_clause 0x1
	global_load_b64 v[10:11], v5, s[4:5] offset:40
	global_load_b128 v[6:9], v5, s[4:5]
	s_wait_loadcnt 0x1
	s_wait_alu 0xf1ff
	v_and_b32_e32 v1, s7, v11
	v_and_b32_e32 v0, s6, v10
	s_delay_alu instid0(VALU_DEP_2) | instskip(NEXT) | instid1(VALU_DEP_2)
	v_mul_lo_u32 v4, 24, v1
	v_mul_lo_u32 v10, 0, v0
	v_mul_hi_u32 v11, 24, v0
	v_mul_lo_u32 v12, 24, v0
	s_delay_alu instid0(VALU_DEP_3) | instskip(SKIP_1) | instid1(VALU_DEP_2)
	v_add_nc_u32_e32 v4, v4, v10
	s_wait_loadcnt 0x0
	v_add_co_u32 v10, vcc_lo, v6, v12
	s_delay_alu instid0(VALU_DEP_2) | instskip(SKIP_1) | instid1(VALU_DEP_1)
	v_add_nc_u32_e32 v4, v4, v11
	s_wait_alu 0xfffd
	v_add_co_ci_u32_e64 v11, null, v7, v4, vcc_lo
	s_and_saveexec_b32 s9, s3
	s_cbranch_execz .LBB3_551
; %bb.550:
	s_wait_alu 0xfffe
	v_dual_mov_b32 v4, s8 :: v_dual_mov_b32 v15, 1
	v_dual_mov_b32 v14, 2 :: v_dual_mov_b32 v13, v5
	s_delay_alu instid0(VALU_DEP_2)
	v_mov_b32_e32 v12, v4
	global_store_b128 v[10:11], v[12:15], off offset:8
.LBB3_551:
	s_wait_alu 0xfffe
	s_or_b32 exec_lo, exec_lo, s9
	v_lshlrev_b64_e32 v[0:1], 12, v[0:1]
	s_mov_b32 s8, 0
	v_and_or_b32 v2, 0xffffff1f, v2, 32
	s_wait_alu 0xfffe
	s_mov_b32 s11, s8
	s_mov_b32 s9, s8
	;; [unrolled: 1-line block ×3, first 2 shown]
	v_add_co_u32 v0, vcc_lo, v8, v0
	s_wait_alu 0xfffd
	v_add_co_ci_u32_e64 v1, null, v9, v1, vcc_lo
	s_wait_alu 0xfffe
	v_dual_mov_b32 v4, 3 :: v_dual_mov_b32 v15, s11
	v_add_co_u32 v8, vcc_lo, v0, v32
	v_readfirstlane_b32 s12, v0
	v_readfirstlane_b32 s13, v1
	s_wait_alu 0xfffd
	v_add_co_ci_u32_e64 v9, null, 0, v1, vcc_lo
	v_dual_mov_b32 v14, s10 :: v_dual_mov_b32 v13, s9
	v_mov_b32_e32 v12, s8
	s_clause 0x3
	global_store_b128 v32, v[2:5], s[12:13]
	global_store_b128 v32, v[12:15], s[12:13] offset:16
	global_store_b128 v32, v[12:15], s[12:13] offset:32
	;; [unrolled: 1-line block ×3, first 2 shown]
	s_and_saveexec_b32 s8, s3
	s_cbranch_execz .LBB3_559
; %bb.552:
	v_mov_b32_e32 v12, 0
	s_mov_b32 s9, exec_lo
	s_clause 0x1
	global_load_b64 v[15:16], v12, s[4:5] offset:32 scope:SCOPE_SYS
	global_load_b64 v[0:1], v12, s[4:5] offset:40
	v_dual_mov_b32 v13, s6 :: v_dual_mov_b32 v14, s7
	s_wait_loadcnt 0x0
	v_and_b32_e32 v1, s7, v1
	v_and_b32_e32 v0, s6, v0
	s_delay_alu instid0(VALU_DEP_2) | instskip(NEXT) | instid1(VALU_DEP_2)
	v_mul_lo_u32 v1, 24, v1
	v_mul_lo_u32 v2, 0, v0
	v_mul_hi_u32 v3, 24, v0
	v_mul_lo_u32 v0, 24, v0
	s_delay_alu instid0(VALU_DEP_3) | instskip(NEXT) | instid1(VALU_DEP_2)
	v_add_nc_u32_e32 v1, v1, v2
	v_add_co_u32 v4, vcc_lo, v6, v0
	s_delay_alu instid0(VALU_DEP_2) | instskip(SKIP_1) | instid1(VALU_DEP_1)
	v_add_nc_u32_e32 v1, v1, v3
	s_wait_alu 0xfffd
	v_add_co_ci_u32_e64 v5, null, v7, v1, vcc_lo
	global_store_b64 v[4:5], v[15:16], off
	global_wb scope:SCOPE_SYS
	s_wait_storecnt 0x0
	global_atomic_cmpswap_b64 v[2:3], v12, v[13:16], s[4:5] offset:32 th:TH_ATOMIC_RETURN scope:SCOPE_SYS
	s_wait_loadcnt 0x0
	v_cmpx_ne_u64_e64 v[2:3], v[15:16]
	s_cbranch_execz .LBB3_555
; %bb.553:
	s_mov_b32 s10, 0
.LBB3_554:                              ; =>This Inner Loop Header: Depth=1
	v_dual_mov_b32 v0, s6 :: v_dual_mov_b32 v1, s7
	s_sleep 1
	global_store_b64 v[4:5], v[2:3], off
	global_wb scope:SCOPE_SYS
	s_wait_storecnt 0x0
	global_atomic_cmpswap_b64 v[0:1], v12, v[0:3], s[4:5] offset:32 th:TH_ATOMIC_RETURN scope:SCOPE_SYS
	s_wait_loadcnt 0x0
	v_cmp_eq_u64_e32 vcc_lo, v[0:1], v[2:3]
	v_dual_mov_b32 v3, v1 :: v_dual_mov_b32 v2, v0
	s_wait_alu 0xfffe
	s_or_b32 s10, vcc_lo, s10
	s_wait_alu 0xfffe
	s_and_not1_b32 exec_lo, exec_lo, s10
	s_cbranch_execnz .LBB3_554
.LBB3_555:
	s_wait_alu 0xfffe
	s_or_b32 exec_lo, exec_lo, s9
	v_mov_b32_e32 v3, 0
	s_mov_b32 s10, exec_lo
	s_mov_b32 s9, exec_lo
	s_wait_alu 0xfffe
	v_mbcnt_lo_u32_b32 v2, s10, 0
	global_load_b64 v[0:1], v3, s[4:5] offset:16
	v_cmpx_eq_u32_e32 0, v2
	s_cbranch_execz .LBB3_557
; %bb.556:
	s_bcnt1_i32_b32 s10, s10
	s_wait_alu 0xfffe
	v_mov_b32_e32 v2, s10
	global_wb scope:SCOPE_SYS
	s_wait_loadcnt 0x0
	s_wait_storecnt 0x0
	global_atomic_add_u64 v[0:1], v[2:3], off offset:8 scope:SCOPE_SYS
.LBB3_557:
	s_or_b32 exec_lo, exec_lo, s9
	s_wait_loadcnt 0x0
	global_load_b64 v[2:3], v[0:1], off offset:16
	s_wait_loadcnt 0x0
	v_cmp_eq_u64_e32 vcc_lo, 0, v[2:3]
	s_cbranch_vccnz .LBB3_559
; %bb.558:
	global_load_b32 v0, v[0:1], off offset:24
	v_mov_b32_e32 v1, 0
	s_wait_loadcnt 0x0
	v_readfirstlane_b32 s9, v0
	global_wb scope:SCOPE_SYS
	s_wait_storecnt 0x0
	global_store_b64 v[2:3], v[0:1], off scope:SCOPE_SYS
	s_and_b32 m0, s9, 0xffffff
	s_sendmsg sendmsg(MSG_INTERRUPT)
.LBB3_559:
	s_wait_alu 0xfffe
	s_or_b32 exec_lo, exec_lo, s8
	s_branch .LBB3_563
.LBB3_560:                              ;   in Loop: Header=BB3_563 Depth=1
	s_wait_alu 0xfffe
	s_or_b32 exec_lo, exec_lo, s8
	s_delay_alu instid0(VALU_DEP_1)
	v_readfirstlane_b32 s8, v0
	s_cmp_eq_u32 s8, 0
	s_cbranch_scc1 .LBB3_562
; %bb.561:                              ;   in Loop: Header=BB3_563 Depth=1
	s_sleep 1
	s_cbranch_execnz .LBB3_563
	s_branch .LBB3_565
.LBB3_562:
	s_branch .LBB3_565
.LBB3_563:                              ; =>This Inner Loop Header: Depth=1
	v_mov_b32_e32 v0, 1
	s_and_saveexec_b32 s8, s3
	s_cbranch_execz .LBB3_560
; %bb.564:                              ;   in Loop: Header=BB3_563 Depth=1
	global_load_b32 v0, v[10:11], off offset:20 scope:SCOPE_SYS
	s_wait_loadcnt 0x0
	global_inv scope:SCOPE_SYS
	v_and_b32_e32 v0, 1, v0
	s_branch .LBB3_560
.LBB3_565:
	global_load_b64 v[0:1], v[8:9], off
	s_and_saveexec_b32 s8, s3
	s_cbranch_execz .LBB3_569
; %bb.566:
	v_mov_b32_e32 v8, 0
	s_clause 0x2
	global_load_b64 v[2:3], v8, s[4:5] offset:40
	global_load_b64 v[11:12], v8, s[4:5] offset:24 scope:SCOPE_SYS
	global_load_b64 v[4:5], v8, s[4:5]
	s_wait_loadcnt 0x2
	v_readfirstlane_b32 s10, v2
	v_readfirstlane_b32 s11, v3
	s_add_nc_u64 s[12:13], s[10:11], 1
	s_wait_alu 0xfffe
	s_add_nc_u64 s[6:7], s[12:13], s[6:7]
	s_wait_alu 0xfffe
	s_cmp_eq_u64 s[6:7], 0
	s_cselect_b32 s7, s13, s7
	s_cselect_b32 s6, s12, s6
	s_wait_alu 0xfffe
	v_mov_b32_e32 v10, s7
	s_and_b64 s[10:11], s[6:7], s[10:11]
	v_mov_b32_e32 v9, s6
	s_wait_alu 0xfffe
	s_mul_u64 s[10:11], s[10:11], 24
	s_wait_loadcnt 0x0
	s_wait_alu 0xfffe
	v_add_co_u32 v6, vcc_lo, v4, s10
	s_wait_alu 0xfffd
	v_add_co_ci_u32_e64 v7, null, s11, v5, vcc_lo
	global_store_b64 v[6:7], v[11:12], off
	global_wb scope:SCOPE_SYS
	s_wait_storecnt 0x0
	global_atomic_cmpswap_b64 v[4:5], v8, v[9:12], s[4:5] offset:24 th:TH_ATOMIC_RETURN scope:SCOPE_SYS
	s_wait_loadcnt 0x0
	v_cmp_ne_u64_e32 vcc_lo, v[4:5], v[11:12]
	s_and_b32 exec_lo, exec_lo, vcc_lo
	s_cbranch_execz .LBB3_569
; %bb.567:
	s_mov_b32 s3, 0
.LBB3_568:                              ; =>This Inner Loop Header: Depth=1
	v_dual_mov_b32 v2, s6 :: v_dual_mov_b32 v3, s7
	s_sleep 1
	global_store_b64 v[6:7], v[4:5], off
	global_wb scope:SCOPE_SYS
	s_wait_storecnt 0x0
	global_atomic_cmpswap_b64 v[2:3], v8, v[2:5], s[4:5] offset:24 th:TH_ATOMIC_RETURN scope:SCOPE_SYS
	s_wait_loadcnt 0x0
	v_cmp_eq_u64_e32 vcc_lo, v[2:3], v[4:5]
	v_dual_mov_b32 v5, v3 :: v_dual_mov_b32 v4, v2
	s_wait_alu 0xfffe
	s_or_b32 s3, vcc_lo, s3
	s_wait_alu 0xfffe
	s_and_not1_b32 exec_lo, exec_lo, s3
	s_cbranch_execnz .LBB3_568
.LBB3_569:
	s_wait_alu 0xfffe
	s_or_b32 exec_lo, exec_lo, s8
	v_readfirstlane_b32 s3, v33
	v_mov_b32_e32 v8, 0
	v_mov_b32_e32 v9, 0
	s_wait_alu 0xf1ff
	s_delay_alu instid0(VALU_DEP_3)
	v_cmp_eq_u32_e64 s3, s3, v33
	s_and_saveexec_b32 s6, s3
	s_cbranch_execz .LBB3_575
; %bb.570:
	v_mov_b32_e32 v2, 0
	s_mov_b32 s7, exec_lo
	global_load_b64 v[5:6], v2, s[4:5] offset:24 scope:SCOPE_SYS
	s_wait_loadcnt 0x0
	global_inv scope:SCOPE_SYS
	s_clause 0x1
	global_load_b64 v[3:4], v2, s[4:5] offset:40
	global_load_b64 v[7:8], v2, s[4:5]
	s_wait_loadcnt 0x1
	v_and_b32_e32 v4, v4, v6
	v_and_b32_e32 v3, v3, v5
	s_delay_alu instid0(VALU_DEP_2) | instskip(NEXT) | instid1(VALU_DEP_2)
	v_mul_lo_u32 v4, 24, v4
	v_mul_lo_u32 v9, 0, v3
	v_mul_hi_u32 v10, 24, v3
	v_mul_lo_u32 v3, 24, v3
	s_delay_alu instid0(VALU_DEP_3) | instskip(SKIP_1) | instid1(VALU_DEP_2)
	v_add_nc_u32_e32 v4, v4, v9
	s_wait_loadcnt 0x0
	v_add_co_u32 v3, vcc_lo, v7, v3
	s_delay_alu instid0(VALU_DEP_2) | instskip(SKIP_1) | instid1(VALU_DEP_1)
	v_add_nc_u32_e32 v4, v4, v10
	s_wait_alu 0xfffd
	v_add_co_ci_u32_e64 v4, null, v8, v4, vcc_lo
	global_load_b64 v[3:4], v[3:4], off scope:SCOPE_SYS
	s_wait_loadcnt 0x0
	global_atomic_cmpswap_b64 v[8:9], v2, v[3:6], s[4:5] offset:24 th:TH_ATOMIC_RETURN scope:SCOPE_SYS
	s_wait_loadcnt 0x0
	global_inv scope:SCOPE_SYS
	v_cmpx_ne_u64_e64 v[8:9], v[5:6]
	s_cbranch_execz .LBB3_574
; %bb.571:
	s_mov_b32 s8, 0
.LBB3_572:                              ; =>This Inner Loop Header: Depth=1
	s_sleep 1
	s_clause 0x1
	global_load_b64 v[3:4], v2, s[4:5] offset:40
	global_load_b64 v[10:11], v2, s[4:5]
	v_dual_mov_b32 v5, v8 :: v_dual_mov_b32 v6, v9
	s_wait_loadcnt 0x1
	s_delay_alu instid0(VALU_DEP_1) | instskip(NEXT) | instid1(VALU_DEP_2)
	v_and_b32_e32 v3, v3, v5
	v_and_b32_e32 v4, v4, v6
	s_wait_loadcnt 0x0
	s_delay_alu instid0(VALU_DEP_2) | instskip(NEXT) | instid1(VALU_DEP_1)
	v_mad_co_u64_u32 v[7:8], null, v3, 24, v[10:11]
	v_mov_b32_e32 v3, v8
	s_delay_alu instid0(VALU_DEP_1) | instskip(NEXT) | instid1(VALU_DEP_1)
	v_mad_co_u64_u32 v[3:4], null, v4, 24, v[3:4]
	v_mov_b32_e32 v8, v3
	global_load_b64 v[3:4], v[7:8], off scope:SCOPE_SYS
	s_wait_loadcnt 0x0
	global_atomic_cmpswap_b64 v[8:9], v2, v[3:6], s[4:5] offset:24 th:TH_ATOMIC_RETURN scope:SCOPE_SYS
	s_wait_loadcnt 0x0
	global_inv scope:SCOPE_SYS
	v_cmp_eq_u64_e32 vcc_lo, v[8:9], v[5:6]
	s_wait_alu 0xfffe
	s_or_b32 s8, vcc_lo, s8
	s_wait_alu 0xfffe
	s_and_not1_b32 exec_lo, exec_lo, s8
	s_cbranch_execnz .LBB3_572
; %bb.573:
	s_or_b32 exec_lo, exec_lo, s8
.LBB3_574:
	s_wait_alu 0xfffe
	s_or_b32 exec_lo, exec_lo, s7
.LBB3_575:
	s_wait_alu 0xfffe
	s_or_b32 exec_lo, exec_lo, s6
	v_readfirstlane_b32 s6, v8
	v_mov_b32_e32 v3, 0
	v_readfirstlane_b32 s7, v9
	s_mov_b32 s8, exec_lo
	s_clause 0x1
	global_load_b64 v[10:11], v3, s[4:5] offset:40
	global_load_b128 v[4:7], v3, s[4:5]
	s_wait_loadcnt 0x1
	s_wait_alu 0xf1ff
	v_and_b32_e32 v11, s7, v11
	v_and_b32_e32 v10, s6, v10
	s_delay_alu instid0(VALU_DEP_2) | instskip(NEXT) | instid1(VALU_DEP_2)
	v_mul_lo_u32 v2, 24, v11
	v_mul_lo_u32 v8, 0, v10
	v_mul_hi_u32 v9, 24, v10
	v_mul_lo_u32 v12, 24, v10
	s_delay_alu instid0(VALU_DEP_3) | instskip(SKIP_1) | instid1(VALU_DEP_2)
	v_add_nc_u32_e32 v2, v2, v8
	s_wait_loadcnt 0x0
	v_add_co_u32 v8, vcc_lo, v4, v12
	s_delay_alu instid0(VALU_DEP_2) | instskip(SKIP_1) | instid1(VALU_DEP_1)
	v_add_nc_u32_e32 v2, v2, v9
	s_wait_alu 0xfffd
	v_add_co_ci_u32_e64 v9, null, v5, v2, vcc_lo
	s_and_saveexec_b32 s9, s3
	s_cbranch_execz .LBB3_577
; %bb.576:
	s_wait_alu 0xfffe
	v_dual_mov_b32 v2, s8 :: v_dual_mov_b32 v15, 1
	v_dual_mov_b32 v14, 2 :: v_dual_mov_b32 v13, v3
	s_delay_alu instid0(VALU_DEP_2)
	v_mov_b32_e32 v12, v2
	global_store_b128 v[8:9], v[12:15], off offset:8
.LBB3_577:
	s_wait_alu 0xfffe
	s_or_b32 exec_lo, exec_lo, s9
	v_lshlrev_b64_e32 v[10:11], 12, v[10:11]
	s_mov_b32 s8, 0
	v_cndmask_b32_e64 v2, -1, v31, s2
	s_wait_alu 0xfffe
	s_mov_b32 s11, s8
	s_mov_b32 s9, s8
	;; [unrolled: 1-line block ×3, first 2 shown]
	v_add_co_u32 v6, vcc_lo, v6, v10
	s_wait_alu 0xfffd
	v_add_co_ci_u32_e64 v7, null, v7, v11, vcc_lo
	v_and_or_b32 v0, 0xffffff1f, v0, 32
	s_delay_alu instid0(VALU_DEP_3) | instskip(SKIP_1) | instid1(VALU_DEP_4)
	v_add_co_u32 v10, vcc_lo, v6, v32
	v_readfirstlane_b32 s12, v6
	v_readfirstlane_b32 s13, v7
	s_wait_alu 0xfffe
	v_dual_mov_b32 v15, s11 :: v_dual_mov_b32 v14, s10
	s_wait_alu 0xfffd
	v_add_co_ci_u32_e64 v11, null, 0, v7, vcc_lo
	v_dual_mov_b32 v13, s9 :: v_dual_mov_b32 v12, s8
	s_clause 0x3
	global_store_b128 v32, v[0:3], s[12:13]
	global_store_b128 v32, v[12:15], s[12:13] offset:16
	global_store_b128 v32, v[12:15], s[12:13] offset:32
	;; [unrolled: 1-line block ×3, first 2 shown]
	s_and_saveexec_b32 s2, s3
	s_cbranch_execz .LBB3_585
; %bb.578:
	v_mov_b32_e32 v7, 0
	v_mov_b32_e32 v13, s7
	s_mov_b32 s8, exec_lo
	s_clause 0x1
	global_load_b64 v[14:15], v7, s[4:5] offset:32 scope:SCOPE_SYS
	global_load_b64 v[0:1], v7, s[4:5] offset:40
	s_wait_loadcnt 0x0
	v_dual_mov_b32 v12, s6 :: v_dual_and_b32 v1, s7, v1
	v_and_b32_e32 v0, s6, v0
	s_delay_alu instid0(VALU_DEP_2) | instskip(NEXT) | instid1(VALU_DEP_2)
	v_mul_lo_u32 v1, 24, v1
	v_mul_lo_u32 v3, 0, v0
	v_mul_hi_u32 v6, 24, v0
	v_mul_lo_u32 v0, 24, v0
	s_delay_alu instid0(VALU_DEP_3) | instskip(NEXT) | instid1(VALU_DEP_2)
	v_add_nc_u32_e32 v1, v1, v3
	v_add_co_u32 v0, vcc_lo, v4, v0
	s_delay_alu instid0(VALU_DEP_2) | instskip(SKIP_1) | instid1(VALU_DEP_1)
	v_add_nc_u32_e32 v1, v1, v6
	s_wait_alu 0xfffd
	v_add_co_ci_u32_e64 v1, null, v5, v1, vcc_lo
	global_store_b64 v[0:1], v[14:15], off
	global_wb scope:SCOPE_SYS
	s_wait_storecnt 0x0
	global_atomic_cmpswap_b64 v[5:6], v7, v[12:15], s[4:5] offset:32 th:TH_ATOMIC_RETURN scope:SCOPE_SYS
	s_wait_loadcnt 0x0
	v_cmpx_ne_u64_e64 v[5:6], v[14:15]
	s_cbranch_execz .LBB3_581
; %bb.579:
	s_mov_b32 s9, 0
.LBB3_580:                              ; =>This Inner Loop Header: Depth=1
	v_dual_mov_b32 v3, s6 :: v_dual_mov_b32 v4, s7
	s_sleep 1
	global_store_b64 v[0:1], v[5:6], off
	global_wb scope:SCOPE_SYS
	s_wait_storecnt 0x0
	global_atomic_cmpswap_b64 v[3:4], v7, v[3:6], s[4:5] offset:32 th:TH_ATOMIC_RETURN scope:SCOPE_SYS
	s_wait_loadcnt 0x0
	v_cmp_eq_u64_e32 vcc_lo, v[3:4], v[5:6]
	v_dual_mov_b32 v6, v4 :: v_dual_mov_b32 v5, v3
	s_wait_alu 0xfffe
	s_or_b32 s9, vcc_lo, s9
	s_wait_alu 0xfffe
	s_and_not1_b32 exec_lo, exec_lo, s9
	s_cbranch_execnz .LBB3_580
.LBB3_581:
	s_wait_alu 0xfffe
	s_or_b32 exec_lo, exec_lo, s8
	v_mov_b32_e32 v4, 0
	s_mov_b32 s9, exec_lo
	s_mov_b32 s8, exec_lo
	s_wait_alu 0xfffe
	v_mbcnt_lo_u32_b32 v3, s9, 0
	global_load_b64 v[0:1], v4, s[4:5] offset:16
	v_cmpx_eq_u32_e32 0, v3
	s_cbranch_execz .LBB3_583
; %bb.582:
	s_bcnt1_i32_b32 s9, s9
	s_wait_alu 0xfffe
	v_mov_b32_e32 v3, s9
	global_wb scope:SCOPE_SYS
	s_wait_loadcnt 0x0
	s_wait_storecnt 0x0
	global_atomic_add_u64 v[0:1], v[3:4], off offset:8 scope:SCOPE_SYS
.LBB3_583:
	s_or_b32 exec_lo, exec_lo, s8
	s_wait_loadcnt 0x0
	global_load_b64 v[3:4], v[0:1], off offset:16
	s_wait_loadcnt 0x0
	v_cmp_eq_u64_e32 vcc_lo, 0, v[3:4]
	s_cbranch_vccnz .LBB3_585
; %bb.584:
	global_load_b32 v0, v[0:1], off offset:24
	v_mov_b32_e32 v1, 0
	s_wait_loadcnt 0x0
	v_readfirstlane_b32 s8, v0
	global_wb scope:SCOPE_SYS
	s_wait_storecnt 0x0
	global_store_b64 v[3:4], v[0:1], off scope:SCOPE_SYS
	s_and_b32 m0, s8, 0xffffff
	s_sendmsg sendmsg(MSG_INTERRUPT)
.LBB3_585:
	s_wait_alu 0xfffe
	s_or_b32 exec_lo, exec_lo, s2
	s_branch .LBB3_589
.LBB3_586:                              ;   in Loop: Header=BB3_589 Depth=1
	s_wait_alu 0xfffe
	s_or_b32 exec_lo, exec_lo, s2
	s_delay_alu instid0(VALU_DEP_1)
	v_readfirstlane_b32 s2, v0
	s_cmp_eq_u32 s2, 0
	s_cbranch_scc1 .LBB3_588
; %bb.587:                              ;   in Loop: Header=BB3_589 Depth=1
	s_sleep 1
	s_cbranch_execnz .LBB3_589
	s_branch .LBB3_591
.LBB3_588:
	s_branch .LBB3_591
.LBB3_589:                              ; =>This Inner Loop Header: Depth=1
	v_mov_b32_e32 v0, 1
	s_and_saveexec_b32 s2, s3
	s_cbranch_execz .LBB3_586
; %bb.590:                              ;   in Loop: Header=BB3_589 Depth=1
	global_load_b32 v0, v[8:9], off offset:20 scope:SCOPE_SYS
	s_wait_loadcnt 0x0
	global_inv scope:SCOPE_SYS
	v_and_b32_e32 v0, 1, v0
	s_branch .LBB3_586
.LBB3_591:
	global_load_b64 v[3:4], v[10:11], off
	s_and_saveexec_b32 s8, s3
	s_cbranch_execz .LBB3_595
; %bb.592:
	v_mov_b32_e32 v9, 0
	s_clause 0x2
	global_load_b64 v[0:1], v9, s[4:5] offset:40
	global_load_b64 v[12:13], v9, s[4:5] offset:24 scope:SCOPE_SYS
	global_load_b64 v[5:6], v9, s[4:5]
	s_wait_loadcnt 0x2
	v_readfirstlane_b32 s10, v0
	v_readfirstlane_b32 s11, v1
	s_add_nc_u64 s[2:3], s[10:11], 1
	s_wait_alu 0xfffe
	s_add_nc_u64 s[6:7], s[2:3], s[6:7]
	s_wait_alu 0xfffe
	s_cmp_eq_u64 s[6:7], 0
	s_cselect_b32 s3, s3, s7
	s_cselect_b32 s2, s2, s6
	s_wait_alu 0xfffe
	v_mov_b32_e32 v11, s3
	s_and_b64 s[6:7], s[2:3], s[10:11]
	v_mov_b32_e32 v10, s2
	s_wait_alu 0xfffe
	s_mul_u64 s[6:7], s[6:7], 24
	s_wait_loadcnt 0x0
	s_wait_alu 0xfffe
	v_add_co_u32 v0, vcc_lo, v5, s6
	s_wait_alu 0xfffd
	v_add_co_ci_u32_e64 v1, null, s7, v6, vcc_lo
	global_store_b64 v[0:1], v[12:13], off
	global_wb scope:SCOPE_SYS
	s_wait_storecnt 0x0
	global_atomic_cmpswap_b64 v[7:8], v9, v[10:13], s[4:5] offset:24 th:TH_ATOMIC_RETURN scope:SCOPE_SYS
	s_wait_loadcnt 0x0
	v_cmp_ne_u64_e32 vcc_lo, v[7:8], v[12:13]
	s_and_b32 exec_lo, exec_lo, vcc_lo
	s_cbranch_execz .LBB3_595
; %bb.593:
	s_mov_b32 s6, 0
.LBB3_594:                              ; =>This Inner Loop Header: Depth=1
	v_dual_mov_b32 v5, s2 :: v_dual_mov_b32 v6, s3
	s_sleep 1
	global_store_b64 v[0:1], v[7:8], off
	global_wb scope:SCOPE_SYS
	s_wait_storecnt 0x0
	global_atomic_cmpswap_b64 v[5:6], v9, v[5:8], s[4:5] offset:24 th:TH_ATOMIC_RETURN scope:SCOPE_SYS
	s_wait_loadcnt 0x0
	v_cmp_eq_u64_e32 vcc_lo, v[5:6], v[7:8]
	v_dual_mov_b32 v8, v6 :: v_dual_mov_b32 v7, v5
	s_wait_alu 0xfffe
	s_or_b32 s6, vcc_lo, s6
	s_wait_alu 0xfffe
	s_and_not1_b32 exec_lo, exec_lo, s6
	s_cbranch_execnz .LBB3_594
.LBB3_595:
	s_wait_alu 0xfffe
	s_or_b32 exec_lo, exec_lo, s8
	v_readfirstlane_b32 s2, v33
	v_mov_b32_e32 v0, 0
	v_mov_b32_e32 v1, 0
	s_wait_alu 0xf1ff
	s_delay_alu instid0(VALU_DEP_3)
	v_cmp_eq_u32_e64 s2, s2, v33
	s_and_saveexec_b32 s3, s2
	s_cbranch_execz .LBB3_601
; %bb.596:
	v_mov_b32_e32 v5, 0
	s_mov_b32 s6, exec_lo
	global_load_b64 v[8:9], v5, s[4:5] offset:24 scope:SCOPE_SYS
	s_wait_loadcnt 0x0
	global_inv scope:SCOPE_SYS
	s_clause 0x1
	global_load_b64 v[0:1], v5, s[4:5] offset:40
	global_load_b64 v[6:7], v5, s[4:5]
	s_wait_loadcnt 0x1
	v_and_b32_e32 v1, v1, v9
	v_and_b32_e32 v0, v0, v8
	s_delay_alu instid0(VALU_DEP_2) | instskip(NEXT) | instid1(VALU_DEP_2)
	v_mul_lo_u32 v1, 24, v1
	v_mul_lo_u32 v10, 0, v0
	v_mul_hi_u32 v11, 24, v0
	v_mul_lo_u32 v0, 24, v0
	s_delay_alu instid0(VALU_DEP_3) | instskip(SKIP_1) | instid1(VALU_DEP_2)
	v_add_nc_u32_e32 v1, v1, v10
	s_wait_loadcnt 0x0
	v_add_co_u32 v0, vcc_lo, v6, v0
	s_delay_alu instid0(VALU_DEP_2) | instskip(SKIP_1) | instid1(VALU_DEP_1)
	v_add_nc_u32_e32 v1, v1, v11
	s_wait_alu 0xfffd
	v_add_co_ci_u32_e64 v1, null, v7, v1, vcc_lo
	global_load_b64 v[6:7], v[0:1], off scope:SCOPE_SYS
	s_wait_loadcnt 0x0
	global_atomic_cmpswap_b64 v[0:1], v5, v[6:9], s[4:5] offset:24 th:TH_ATOMIC_RETURN scope:SCOPE_SYS
	s_wait_loadcnt 0x0
	global_inv scope:SCOPE_SYS
	v_cmpx_ne_u64_e64 v[0:1], v[8:9]
	s_cbranch_execz .LBB3_600
; %bb.597:
	s_mov_b32 s7, 0
.LBB3_598:                              ; =>This Inner Loop Header: Depth=1
	s_sleep 1
	s_clause 0x1
	global_load_b64 v[6:7], v5, s[4:5] offset:40
	global_load_b64 v[10:11], v5, s[4:5]
	v_dual_mov_b32 v9, v1 :: v_dual_mov_b32 v8, v0
	s_wait_loadcnt 0x1
	s_delay_alu instid0(VALU_DEP_1) | instskip(NEXT) | instid1(VALU_DEP_2)
	v_and_b32_e32 v0, v6, v8
	v_and_b32_e32 v6, v7, v9
	s_wait_loadcnt 0x0
	s_delay_alu instid0(VALU_DEP_2) | instskip(NEXT) | instid1(VALU_DEP_1)
	v_mad_co_u64_u32 v[0:1], null, v0, 24, v[10:11]
	v_mad_co_u64_u32 v[6:7], null, v6, 24, v[1:2]
	s_delay_alu instid0(VALU_DEP_1)
	v_mov_b32_e32 v1, v6
	global_load_b64 v[6:7], v[0:1], off scope:SCOPE_SYS
	s_wait_loadcnt 0x0
	global_atomic_cmpswap_b64 v[0:1], v5, v[6:9], s[4:5] offset:24 th:TH_ATOMIC_RETURN scope:SCOPE_SYS
	s_wait_loadcnt 0x0
	global_inv scope:SCOPE_SYS
	v_cmp_eq_u64_e32 vcc_lo, v[0:1], v[8:9]
	s_wait_alu 0xfffe
	s_or_b32 s7, vcc_lo, s7
	s_wait_alu 0xfffe
	s_and_not1_b32 exec_lo, exec_lo, s7
	s_cbranch_execnz .LBB3_598
; %bb.599:
	s_or_b32 exec_lo, exec_lo, s7
.LBB3_600:
	s_wait_alu 0xfffe
	s_or_b32 exec_lo, exec_lo, s6
.LBB3_601:
	s_wait_alu 0xfffe
	s_or_b32 exec_lo, exec_lo, s3
	v_readfirstlane_b32 s6, v0
	v_mov_b32_e32 v6, 0
	v_readfirstlane_b32 s7, v1
	s_mov_b32 s3, exec_lo
	s_clause 0x1
	global_load_b64 v[11:12], v6, s[4:5] offset:40
	global_load_b128 v[7:10], v6, s[4:5]
	s_wait_loadcnt 0x1
	s_wait_alu 0xf1ff
	v_and_b32_e32 v12, s7, v12
	v_and_b32_e32 v11, s6, v11
	s_delay_alu instid0(VALU_DEP_2) | instskip(NEXT) | instid1(VALU_DEP_2)
	v_mul_lo_u32 v0, 24, v12
	v_mul_lo_u32 v1, 0, v11
	v_mul_hi_u32 v5, 24, v11
	v_mul_lo_u32 v13, 24, v11
	s_delay_alu instid0(VALU_DEP_3) | instskip(NEXT) | instid1(VALU_DEP_1)
	v_add_nc_u32_e32 v0, v0, v1
	v_add_nc_u32_e32 v1, v0, v5
	s_wait_loadcnt 0x0
	s_delay_alu instid0(VALU_DEP_3) | instskip(SKIP_1) | instid1(VALU_DEP_2)
	v_add_co_u32 v0, vcc_lo, v7, v13
	s_wait_alu 0xfffd
	v_add_co_ci_u32_e64 v1, null, v8, v1, vcc_lo
	s_and_saveexec_b32 s8, s2
	s_cbranch_execz .LBB3_603
; %bb.602:
	s_wait_alu 0xfffe
	v_dual_mov_b32 v5, s3 :: v_dual_mov_b32 v16, 1
	v_dual_mov_b32 v15, 2 :: v_dual_mov_b32 v14, v6
	s_delay_alu instid0(VALU_DEP_2)
	v_mov_b32_e32 v13, v5
	global_store_b128 v[0:1], v[13:16], off offset:8
.LBB3_603:
	s_wait_alu 0xfffe
	s_or_b32 exec_lo, exec_lo, s8
	v_lshlrev_b64_e32 v[11:12], 12, v[11:12]
	s_mov_b32 s8, 0
	v_lshrrev_b32_e32 v5, 2, v26
	s_wait_alu 0xfffe
	s_mov_b32 s11, s8
	s_mov_b32 s9, s8
	;; [unrolled: 1-line block ×3, first 2 shown]
	v_add_co_u32 v9, vcc_lo, v9, v11
	s_wait_alu 0xfffd
	v_add_co_ci_u32_e64 v11, null, v10, v12, vcc_lo
	v_and_or_b32 v3, 0xffffff1f, v3, 32
	s_delay_alu instid0(VALU_DEP_3) | instskip(SKIP_1) | instid1(VALU_DEP_4)
	v_add_co_u32 v10, vcc_lo, v9, v32
	v_readfirstlane_b32 s12, v9
	v_readfirstlane_b32 s13, v11
	s_wait_alu 0xfffe
	v_dual_mov_b32 v15, s11 :: v_dual_mov_b32 v14, s10
	s_wait_alu 0xfffd
	v_add_co_ci_u32_e64 v11, null, 0, v11, vcc_lo
	v_dual_mov_b32 v13, s9 :: v_dual_mov_b32 v12, s8
	s_clause 0x3
	global_store_b128 v32, v[3:6], s[12:13]
	global_store_b128 v32, v[12:15], s[12:13] offset:16
	global_store_b128 v32, v[12:15], s[12:13] offset:32
	global_store_b128 v32, v[12:15], s[12:13] offset:48
	s_and_saveexec_b32 s3, s2
	s_cbranch_execz .LBB3_611
; %bb.604:
	v_mov_b32_e32 v12, 0
	v_mov_b32_e32 v14, s7
	s_mov_b32 s8, exec_lo
	s_clause 0x1
	global_load_b64 v[15:16], v12, s[4:5] offset:32 scope:SCOPE_SYS
	global_load_b64 v[3:4], v12, s[4:5] offset:40
	s_wait_loadcnt 0x0
	v_dual_mov_b32 v13, s6 :: v_dual_and_b32 v4, s7, v4
	v_and_b32_e32 v3, s6, v3
	s_delay_alu instid0(VALU_DEP_2) | instskip(NEXT) | instid1(VALU_DEP_2)
	v_mul_lo_u32 v4, 24, v4
	v_mul_lo_u32 v6, 0, v3
	v_mul_hi_u32 v9, 24, v3
	v_mul_lo_u32 v3, 24, v3
	s_delay_alu instid0(VALU_DEP_3) | instskip(NEXT) | instid1(VALU_DEP_2)
	v_add_nc_u32_e32 v4, v4, v6
	v_add_co_u32 v3, vcc_lo, v7, v3
	s_delay_alu instid0(VALU_DEP_2) | instskip(SKIP_1) | instid1(VALU_DEP_1)
	v_add_nc_u32_e32 v4, v4, v9
	s_wait_alu 0xfffd
	v_add_co_ci_u32_e64 v4, null, v8, v4, vcc_lo
	global_store_b64 v[3:4], v[15:16], off
	global_wb scope:SCOPE_SYS
	s_wait_storecnt 0x0
	global_atomic_cmpswap_b64 v[8:9], v12, v[13:16], s[4:5] offset:32 th:TH_ATOMIC_RETURN scope:SCOPE_SYS
	s_wait_loadcnt 0x0
	v_cmpx_ne_u64_e64 v[8:9], v[15:16]
	s_cbranch_execz .LBB3_607
; %bb.605:
	s_mov_b32 s9, 0
.LBB3_606:                              ; =>This Inner Loop Header: Depth=1
	v_dual_mov_b32 v6, s6 :: v_dual_mov_b32 v7, s7
	s_sleep 1
	global_store_b64 v[3:4], v[8:9], off
	global_wb scope:SCOPE_SYS
	s_wait_storecnt 0x0
	global_atomic_cmpswap_b64 v[6:7], v12, v[6:9], s[4:5] offset:32 th:TH_ATOMIC_RETURN scope:SCOPE_SYS
	s_wait_loadcnt 0x0
	v_cmp_eq_u64_e32 vcc_lo, v[6:7], v[8:9]
	v_dual_mov_b32 v9, v7 :: v_dual_mov_b32 v8, v6
	s_wait_alu 0xfffe
	s_or_b32 s9, vcc_lo, s9
	s_wait_alu 0xfffe
	s_and_not1_b32 exec_lo, exec_lo, s9
	s_cbranch_execnz .LBB3_606
.LBB3_607:
	s_wait_alu 0xfffe
	s_or_b32 exec_lo, exec_lo, s8
	v_mov_b32_e32 v7, 0
	s_mov_b32 s9, exec_lo
	s_mov_b32 s8, exec_lo
	s_wait_alu 0xfffe
	v_mbcnt_lo_u32_b32 v6, s9, 0
	global_load_b64 v[3:4], v7, s[4:5] offset:16
	v_cmpx_eq_u32_e32 0, v6
	s_cbranch_execz .LBB3_609
; %bb.608:
	s_bcnt1_i32_b32 s9, s9
	s_wait_alu 0xfffe
	v_mov_b32_e32 v6, s9
	global_wb scope:SCOPE_SYS
	s_wait_loadcnt 0x0
	s_wait_storecnt 0x0
	global_atomic_add_u64 v[3:4], v[6:7], off offset:8 scope:SCOPE_SYS
.LBB3_609:
	s_or_b32 exec_lo, exec_lo, s8
	s_wait_loadcnt 0x0
	global_load_b64 v[6:7], v[3:4], off offset:16
	s_wait_loadcnt 0x0
	v_cmp_eq_u64_e32 vcc_lo, 0, v[6:7]
	s_cbranch_vccnz .LBB3_611
; %bb.610:
	global_load_b32 v3, v[3:4], off offset:24
	v_mov_b32_e32 v4, 0
	s_wait_loadcnt 0x0
	v_readfirstlane_b32 s8, v3
	global_wb scope:SCOPE_SYS
	s_wait_storecnt 0x0
	global_store_b64 v[6:7], v[3:4], off scope:SCOPE_SYS
	s_and_b32 m0, s8, 0xffffff
	s_sendmsg sendmsg(MSG_INTERRUPT)
.LBB3_611:
	s_wait_alu 0xfffe
	s_or_b32 exec_lo, exec_lo, s3
	s_branch .LBB3_615
.LBB3_612:                              ;   in Loop: Header=BB3_615 Depth=1
	s_wait_alu 0xfffe
	s_or_b32 exec_lo, exec_lo, s3
	s_delay_alu instid0(VALU_DEP_1)
	v_readfirstlane_b32 s3, v3
	s_cmp_eq_u32 s3, 0
	s_cbranch_scc1 .LBB3_614
; %bb.613:                              ;   in Loop: Header=BB3_615 Depth=1
	s_sleep 1
	s_cbranch_execnz .LBB3_615
	s_branch .LBB3_617
.LBB3_614:
	s_branch .LBB3_617
.LBB3_615:                              ; =>This Inner Loop Header: Depth=1
	v_mov_b32_e32 v3, 1
	s_and_saveexec_b32 s3, s2
	s_cbranch_execz .LBB3_612
; %bb.616:                              ;   in Loop: Header=BB3_615 Depth=1
	global_load_b32 v3, v[0:1], off offset:20 scope:SCOPE_SYS
	s_wait_loadcnt 0x0
	global_inv scope:SCOPE_SYS
	v_and_b32_e32 v3, 1, v3
	s_branch .LBB3_612
.LBB3_617:
	global_load_b64 v[6:7], v[10:11], off
	s_and_saveexec_b32 s8, s2
	s_cbranch_execz .LBB3_621
; %bb.618:
	v_mov_b32_e32 v3, 0
	s_clause 0x2
	global_load_b64 v[0:1], v3, s[4:5] offset:40
	global_load_b64 v[12:13], v3, s[4:5] offset:24 scope:SCOPE_SYS
	global_load_b64 v[8:9], v3, s[4:5]
	s_wait_loadcnt 0x2
	v_readfirstlane_b32 s10, v0
	v_readfirstlane_b32 s11, v1
	s_add_nc_u64 s[2:3], s[10:11], 1
	s_wait_alu 0xfffe
	s_add_nc_u64 s[6:7], s[2:3], s[6:7]
	s_wait_alu 0xfffe
	s_cmp_eq_u64 s[6:7], 0
	s_cselect_b32 s3, s3, s7
	s_cselect_b32 s2, s2, s6
	s_wait_alu 0xfffe
	v_mov_b32_e32 v11, s3
	s_and_b64 s[6:7], s[2:3], s[10:11]
	v_mov_b32_e32 v10, s2
	s_wait_alu 0xfffe
	s_mul_u64 s[6:7], s[6:7], 24
	s_wait_loadcnt 0x0
	s_wait_alu 0xfffe
	v_add_co_u32 v0, vcc_lo, v8, s6
	s_wait_alu 0xfffd
	v_add_co_ci_u32_e64 v1, null, s7, v9, vcc_lo
	global_store_b64 v[0:1], v[12:13], off
	global_wb scope:SCOPE_SYS
	s_wait_storecnt 0x0
	global_atomic_cmpswap_b64 v[10:11], v3, v[10:13], s[4:5] offset:24 th:TH_ATOMIC_RETURN scope:SCOPE_SYS
	s_wait_loadcnt 0x0
	v_cmp_ne_u64_e32 vcc_lo, v[10:11], v[12:13]
	s_and_b32 exec_lo, exec_lo, vcc_lo
	s_cbranch_execz .LBB3_621
; %bb.619:
	s_mov_b32 s6, 0
.LBB3_620:                              ; =>This Inner Loop Header: Depth=1
	v_dual_mov_b32 v8, s2 :: v_dual_mov_b32 v9, s3
	s_sleep 1
	global_store_b64 v[0:1], v[10:11], off
	global_wb scope:SCOPE_SYS
	s_wait_storecnt 0x0
	global_atomic_cmpswap_b64 v[8:9], v3, v[8:11], s[4:5] offset:24 th:TH_ATOMIC_RETURN scope:SCOPE_SYS
	s_wait_loadcnt 0x0
	v_cmp_eq_u64_e32 vcc_lo, v[8:9], v[10:11]
	v_dual_mov_b32 v11, v9 :: v_dual_mov_b32 v10, v8
	s_wait_alu 0xfffe
	s_or_b32 s6, vcc_lo, s6
	s_wait_alu 0xfffe
	s_and_not1_b32 exec_lo, exec_lo, s6
	s_cbranch_execnz .LBB3_620
.LBB3_621:
	s_wait_alu 0xfffe
	s_or_b32 exec_lo, exec_lo, s8
	v_readfirstlane_b32 s2, v33
	v_mov_b32_e32 v0, 0
	v_mov_b32_e32 v1, 0
	s_wait_alu 0xf1ff
	s_delay_alu instid0(VALU_DEP_3)
	v_cmp_eq_u32_e64 s2, s2, v33
	s_and_saveexec_b32 s3, s2
	s_cbranch_execz .LBB3_627
; %bb.622:
	v_mov_b32_e32 v3, 0
	s_mov_b32 s6, exec_lo
	global_load_b64 v[10:11], v3, s[4:5] offset:24 scope:SCOPE_SYS
	s_wait_loadcnt 0x0
	global_inv scope:SCOPE_SYS
	s_clause 0x1
	global_load_b64 v[0:1], v3, s[4:5] offset:40
	global_load_b64 v[8:9], v3, s[4:5]
	s_wait_loadcnt 0x1
	v_and_b32_e32 v1, v1, v11
	v_and_b32_e32 v0, v0, v10
	s_delay_alu instid0(VALU_DEP_2) | instskip(NEXT) | instid1(VALU_DEP_2)
	v_mul_lo_u32 v1, 24, v1
	v_mul_lo_u32 v4, 0, v0
	v_mul_hi_u32 v12, 24, v0
	v_mul_lo_u32 v0, 24, v0
	s_delay_alu instid0(VALU_DEP_3) | instskip(SKIP_1) | instid1(VALU_DEP_2)
	v_add_nc_u32_e32 v1, v1, v4
	s_wait_loadcnt 0x0
	v_add_co_u32 v0, vcc_lo, v8, v0
	s_delay_alu instid0(VALU_DEP_2) | instskip(SKIP_1) | instid1(VALU_DEP_1)
	v_add_nc_u32_e32 v1, v1, v12
	s_wait_alu 0xfffd
	v_add_co_ci_u32_e64 v1, null, v9, v1, vcc_lo
	global_load_b64 v[8:9], v[0:1], off scope:SCOPE_SYS
	s_wait_loadcnt 0x0
	global_atomic_cmpswap_b64 v[0:1], v3, v[8:11], s[4:5] offset:24 th:TH_ATOMIC_RETURN scope:SCOPE_SYS
	s_wait_loadcnt 0x0
	global_inv scope:SCOPE_SYS
	v_cmpx_ne_u64_e64 v[0:1], v[10:11]
	s_cbranch_execz .LBB3_626
; %bb.623:
	s_mov_b32 s7, 0
.LBB3_624:                              ; =>This Inner Loop Header: Depth=1
	s_sleep 1
	s_clause 0x1
	global_load_b64 v[8:9], v3, s[4:5] offset:40
	global_load_b64 v[12:13], v3, s[4:5]
	v_dual_mov_b32 v11, v1 :: v_dual_mov_b32 v10, v0
	s_wait_loadcnt 0x1
	s_delay_alu instid0(VALU_DEP_1) | instskip(NEXT) | instid1(VALU_DEP_2)
	v_and_b32_e32 v0, v8, v10
	v_and_b32_e32 v4, v9, v11
	s_wait_loadcnt 0x0
	s_delay_alu instid0(VALU_DEP_2) | instskip(NEXT) | instid1(VALU_DEP_1)
	v_mad_co_u64_u32 v[0:1], null, v0, 24, v[12:13]
	v_mad_co_u64_u32 v[8:9], null, v4, 24, v[1:2]
	s_delay_alu instid0(VALU_DEP_1)
	v_mov_b32_e32 v1, v8
	global_load_b64 v[8:9], v[0:1], off scope:SCOPE_SYS
	s_wait_loadcnt 0x0
	global_atomic_cmpswap_b64 v[0:1], v3, v[8:11], s[4:5] offset:24 th:TH_ATOMIC_RETURN scope:SCOPE_SYS
	s_wait_loadcnt 0x0
	global_inv scope:SCOPE_SYS
	v_cmp_eq_u64_e32 vcc_lo, v[0:1], v[10:11]
	s_wait_alu 0xfffe
	s_or_b32 s7, vcc_lo, s7
	s_wait_alu 0xfffe
	s_and_not1_b32 exec_lo, exec_lo, s7
	s_cbranch_execnz .LBB3_624
; %bb.625:
	s_or_b32 exec_lo, exec_lo, s7
.LBB3_626:
	s_wait_alu 0xfffe
	s_or_b32 exec_lo, exec_lo, s6
.LBB3_627:
	s_wait_alu 0xfffe
	s_or_b32 exec_lo, exec_lo, s3
	v_readfirstlane_b32 s7, v1
	v_mov_b32_e32 v9, 0
	v_readfirstlane_b32 s6, v0
	s_mov_b32 s3, exec_lo
	s_clause 0x1
	global_load_b64 v[3:4], v9, s[4:5] offset:40
	global_load_b128 v[10:13], v9, s[4:5]
	s_wait_loadcnt 0x1
	s_wait_alu 0xf1ff
	v_and_b32_e32 v4, s7, v4
	v_and_b32_e32 v3, s6, v3
	s_delay_alu instid0(VALU_DEP_2) | instskip(NEXT) | instid1(VALU_DEP_2)
	v_mul_lo_u32 v0, 24, v4
	v_mul_lo_u32 v1, 0, v3
	v_mul_hi_u32 v8, 24, v3
	v_mul_lo_u32 v14, 24, v3
	s_delay_alu instid0(VALU_DEP_3) | instskip(NEXT) | instid1(VALU_DEP_1)
	v_add_nc_u32_e32 v0, v0, v1
	v_add_nc_u32_e32 v1, v0, v8
	s_wait_loadcnt 0x0
	s_delay_alu instid0(VALU_DEP_3) | instskip(SKIP_1) | instid1(VALU_DEP_2)
	v_add_co_u32 v0, vcc_lo, v10, v14
	s_wait_alu 0xfffd
	v_add_co_ci_u32_e64 v1, null, v11, v1, vcc_lo
	s_and_saveexec_b32 s8, s2
	s_cbranch_execz .LBB3_629
; %bb.628:
	s_wait_alu 0xfffe
	v_dual_mov_b32 v8, s3 :: v_dual_mov_b32 v17, 1
	v_dual_mov_b32 v16, 2 :: v_dual_mov_b32 v15, v9
	s_delay_alu instid0(VALU_DEP_2)
	v_mov_b32_e32 v14, v8
	global_store_b128 v[0:1], v[14:17], off offset:8
.LBB3_629:
	s_wait_alu 0xfffe
	s_or_b32 exec_lo, exec_lo, s8
	v_lshlrev_b64_e32 v[3:4], 12, v[3:4]
	s_add_co_i32 s20, s20, 3
	s_mov_b32 s8, 0
	s_wait_alu 0xfffe
	s_lshr_b32 s3, s20, 2
	s_mov_b32 s11, s8
	s_mov_b32 s9, s8
	v_add_co_u32 v3, vcc_lo, v12, v3
	s_wait_alu 0xfffd
	v_add_co_ci_u32_e64 v4, null, v13, v4, vcc_lo
	s_mov_b32 s10, s8
	v_and_or_b32 v6, 0xffffff1d, v6, 34
	s_wait_alu 0xfffe
	v_dual_mov_b32 v8, s3 :: v_dual_mov_b32 v15, s11
	v_readfirstlane_b32 s12, v3
	v_readfirstlane_b32 s13, v4
	v_dual_mov_b32 v14, s10 :: v_dual_mov_b32 v13, s9
	v_mov_b32_e32 v12, s8
	s_clause 0x3
	global_store_b128 v32, v[6:9], s[12:13]
	global_store_b128 v32, v[12:15], s[12:13] offset:16
	global_store_b128 v32, v[12:15], s[12:13] offset:32
	global_store_b128 v32, v[12:15], s[12:13] offset:48
	s_and_saveexec_b32 s3, s2
	s_cbranch_execz .LBB3_637
; %bb.630:
	v_mov_b32_e32 v12, 0
	v_mov_b32_e32 v14, s7
	s_mov_b32 s8, exec_lo
	s_clause 0x1
	global_load_b64 v[15:16], v12, s[4:5] offset:32 scope:SCOPE_SYS
	global_load_b64 v[3:4], v12, s[4:5] offset:40
	s_wait_loadcnt 0x0
	v_dual_mov_b32 v13, s6 :: v_dual_and_b32 v4, s7, v4
	v_and_b32_e32 v3, s6, v3
	s_delay_alu instid0(VALU_DEP_2) | instskip(NEXT) | instid1(VALU_DEP_2)
	v_mul_lo_u32 v4, 24, v4
	v_mul_lo_u32 v6, 0, v3
	v_mul_hi_u32 v7, 24, v3
	v_mul_lo_u32 v3, 24, v3
	s_delay_alu instid0(VALU_DEP_3) | instskip(NEXT) | instid1(VALU_DEP_2)
	v_add_nc_u32_e32 v4, v4, v6
	v_add_co_u32 v3, vcc_lo, v10, v3
	s_delay_alu instid0(VALU_DEP_2) | instskip(SKIP_1) | instid1(VALU_DEP_1)
	v_add_nc_u32_e32 v4, v4, v7
	s_wait_alu 0xfffd
	v_add_co_ci_u32_e64 v4, null, v11, v4, vcc_lo
	global_store_b64 v[3:4], v[15:16], off
	global_wb scope:SCOPE_SYS
	s_wait_storecnt 0x0
	global_atomic_cmpswap_b64 v[8:9], v12, v[13:16], s[4:5] offset:32 th:TH_ATOMIC_RETURN scope:SCOPE_SYS
	s_wait_loadcnt 0x0
	v_cmpx_ne_u64_e64 v[8:9], v[15:16]
	s_cbranch_execz .LBB3_633
; %bb.631:
	s_mov_b32 s9, 0
.LBB3_632:                              ; =>This Inner Loop Header: Depth=1
	v_dual_mov_b32 v6, s6 :: v_dual_mov_b32 v7, s7
	s_sleep 1
	global_store_b64 v[3:4], v[8:9], off
	global_wb scope:SCOPE_SYS
	s_wait_storecnt 0x0
	global_atomic_cmpswap_b64 v[6:7], v12, v[6:9], s[4:5] offset:32 th:TH_ATOMIC_RETURN scope:SCOPE_SYS
	s_wait_loadcnt 0x0
	v_cmp_eq_u64_e32 vcc_lo, v[6:7], v[8:9]
	v_dual_mov_b32 v9, v7 :: v_dual_mov_b32 v8, v6
	s_wait_alu 0xfffe
	s_or_b32 s9, vcc_lo, s9
	s_wait_alu 0xfffe
	s_and_not1_b32 exec_lo, exec_lo, s9
	s_cbranch_execnz .LBB3_632
.LBB3_633:
	s_wait_alu 0xfffe
	s_or_b32 exec_lo, exec_lo, s8
	v_mov_b32_e32 v7, 0
	s_mov_b32 s9, exec_lo
	s_mov_b32 s8, exec_lo
	s_wait_alu 0xfffe
	v_mbcnt_lo_u32_b32 v6, s9, 0
	global_load_b64 v[3:4], v7, s[4:5] offset:16
	v_cmpx_eq_u32_e32 0, v6
	s_cbranch_execz .LBB3_635
; %bb.634:
	s_bcnt1_i32_b32 s9, s9
	s_wait_alu 0xfffe
	v_mov_b32_e32 v6, s9
	global_wb scope:SCOPE_SYS
	s_wait_loadcnt 0x0
	s_wait_storecnt 0x0
	global_atomic_add_u64 v[3:4], v[6:7], off offset:8 scope:SCOPE_SYS
.LBB3_635:
	s_or_b32 exec_lo, exec_lo, s8
	s_wait_loadcnt 0x0
	global_load_b64 v[6:7], v[3:4], off offset:16
	s_wait_loadcnt 0x0
	v_cmp_eq_u64_e32 vcc_lo, 0, v[6:7]
	s_cbranch_vccnz .LBB3_637
; %bb.636:
	global_load_b32 v3, v[3:4], off offset:24
	v_mov_b32_e32 v4, 0
	s_wait_loadcnt 0x0
	v_readfirstlane_b32 s8, v3
	global_wb scope:SCOPE_SYS
	s_wait_storecnt 0x0
	global_store_b64 v[6:7], v[3:4], off scope:SCOPE_SYS
	s_and_b32 m0, s8, 0xffffff
	s_sendmsg sendmsg(MSG_INTERRUPT)
.LBB3_637:
	s_wait_alu 0xfffe
	s_or_b32 exec_lo, exec_lo, s3
	s_branch .LBB3_641
.LBB3_638:                              ;   in Loop: Header=BB3_641 Depth=1
	s_wait_alu 0xfffe
	s_or_b32 exec_lo, exec_lo, s3
	s_delay_alu instid0(VALU_DEP_1)
	v_readfirstlane_b32 s3, v3
	s_cmp_eq_u32 s3, 0
	s_cbranch_scc1 .LBB3_640
; %bb.639:                              ;   in Loop: Header=BB3_641 Depth=1
	s_sleep 1
	s_cbranch_execnz .LBB3_641
	s_branch .LBB3_643
.LBB3_640:
	s_branch .LBB3_643
.LBB3_641:                              ; =>This Inner Loop Header: Depth=1
	v_mov_b32_e32 v3, 1
	s_and_saveexec_b32 s3, s2
	s_cbranch_execz .LBB3_638
; %bb.642:                              ;   in Loop: Header=BB3_641 Depth=1
	global_load_b32 v3, v[0:1], off offset:20 scope:SCOPE_SYS
	s_wait_loadcnt 0x0
	global_inv scope:SCOPE_SYS
	v_and_b32_e32 v3, 1, v3
	s_branch .LBB3_638
.LBB3_643:
	s_and_saveexec_b32 s8, s2
	s_cbranch_execz .LBB3_647
; %bb.644:
	v_mov_b32_e32 v3, 0
	s_clause 0x2
	global_load_b64 v[0:1], v3, s[4:5] offset:40
	global_load_b64 v[10:11], v3, s[4:5] offset:24 scope:SCOPE_SYS
	global_load_b64 v[6:7], v3, s[4:5]
	s_wait_loadcnt 0x2
	v_readfirstlane_b32 s10, v0
	v_readfirstlane_b32 s11, v1
	s_add_nc_u64 s[2:3], s[10:11], 1
	s_wait_alu 0xfffe
	s_add_nc_u64 s[6:7], s[2:3], s[6:7]
	s_wait_alu 0xfffe
	s_cmp_eq_u64 s[6:7], 0
	s_cselect_b32 s3, s3, s7
	s_cselect_b32 s2, s2, s6
	s_wait_alu 0xfffe
	v_mov_b32_e32 v9, s3
	s_and_b64 s[6:7], s[2:3], s[10:11]
	v_mov_b32_e32 v8, s2
	s_wait_alu 0xfffe
	s_mul_u64 s[6:7], s[6:7], 24
	s_wait_loadcnt 0x0
	s_wait_alu 0xfffe
	v_add_co_u32 v0, vcc_lo, v6, s6
	s_wait_alu 0xfffd
	v_add_co_ci_u32_e64 v1, null, s7, v7, vcc_lo
	global_store_b64 v[0:1], v[10:11], off
	global_wb scope:SCOPE_SYS
	s_wait_storecnt 0x0
	global_atomic_cmpswap_b64 v[8:9], v3, v[8:11], s[4:5] offset:24 th:TH_ATOMIC_RETURN scope:SCOPE_SYS
	s_wait_loadcnt 0x0
	v_cmp_ne_u64_e32 vcc_lo, v[8:9], v[10:11]
	s_and_b32 exec_lo, exec_lo, vcc_lo
	s_cbranch_execz .LBB3_647
; %bb.645:
	s_mov_b32 s6, 0
.LBB3_646:                              ; =>This Inner Loop Header: Depth=1
	v_dual_mov_b32 v6, s2 :: v_dual_mov_b32 v7, s3
	s_sleep 1
	global_store_b64 v[0:1], v[8:9], off
	global_wb scope:SCOPE_SYS
	s_wait_storecnt 0x0
	global_atomic_cmpswap_b64 v[6:7], v3, v[6:9], s[4:5] offset:24 th:TH_ATOMIC_RETURN scope:SCOPE_SYS
	s_wait_loadcnt 0x0
	v_cmp_eq_u64_e32 vcc_lo, v[6:7], v[8:9]
	v_dual_mov_b32 v9, v7 :: v_dual_mov_b32 v8, v6
	s_wait_alu 0xfffe
	s_or_b32 s6, vcc_lo, s6
	s_wait_alu 0xfffe
	s_and_not1_b32 exec_lo, exec_lo, s6
	s_cbranch_execnz .LBB3_646
.LBB3_647:
	s_wait_alu 0xfffe
	s_or_b32 exec_lo, exec_lo, s8
	s_load_b64 s[0:1], s[0:1], 0x0
	v_lshlrev_b32_e32 v0, 2, v5
	s_wait_kmcnt 0x0
	global_store_b32 v0, v2, s[0:1]
	s_endpgm
	.section	.rodata,"a",@progbits
	.p2align	6, 0x0
	.amdhsa_kernel _Z32kernel_cg_group_partition_staticILj4EEvPibS0_
		.amdhsa_group_segment_fixed_size 0
		.amdhsa_private_segment_fixed_size 0
		.amdhsa_kernarg_size 280
		.amdhsa_user_sgpr_count 2
		.amdhsa_user_sgpr_dispatch_ptr 0
		.amdhsa_user_sgpr_queue_ptr 0
		.amdhsa_user_sgpr_kernarg_segment_ptr 1
		.amdhsa_user_sgpr_dispatch_id 0
		.amdhsa_user_sgpr_private_segment_size 0
		.amdhsa_wavefront_size32 1
		.amdhsa_uses_dynamic_stack 0
		.amdhsa_enable_private_segment 0
		.amdhsa_system_sgpr_workgroup_id_x 1
		.amdhsa_system_sgpr_workgroup_id_y 0
		.amdhsa_system_sgpr_workgroup_id_z 0
		.amdhsa_system_sgpr_workgroup_info 0
		.amdhsa_system_vgpr_workitem_id 2
		.amdhsa_next_free_vgpr 37
		.amdhsa_next_free_sgpr 28
		.amdhsa_reserve_vcc 1
		.amdhsa_float_round_mode_32 0
		.amdhsa_float_round_mode_16_64 0
		.amdhsa_float_denorm_mode_32 3
		.amdhsa_float_denorm_mode_16_64 3
		.amdhsa_fp16_overflow 0
		.amdhsa_workgroup_processor_mode 1
		.amdhsa_memory_ordered 1
		.amdhsa_forward_progress 1
		.amdhsa_inst_pref_size 255
		.amdhsa_round_robin_scheduling 0
		.amdhsa_exception_fp_ieee_invalid_op 0
		.amdhsa_exception_fp_denorm_src 0
		.amdhsa_exception_fp_ieee_div_zero 0
		.amdhsa_exception_fp_ieee_overflow 0
		.amdhsa_exception_fp_ieee_underflow 0
		.amdhsa_exception_fp_ieee_inexact 0
		.amdhsa_exception_int_div_zero 0
	.end_amdhsa_kernel
	.section	.text._Z32kernel_cg_group_partition_staticILj4EEvPibS0_,"axG",@progbits,_Z32kernel_cg_group_partition_staticILj4EEvPibS0_,comdat
.Lfunc_end3:
	.size	_Z32kernel_cg_group_partition_staticILj4EEvPibS0_, .Lfunc_end3-_Z32kernel_cg_group_partition_staticILj4EEvPibS0_
                                        ; -- End function
	.set _Z32kernel_cg_group_partition_staticILj4EEvPibS0_.num_vgpr, 37
	.set _Z32kernel_cg_group_partition_staticILj4EEvPibS0_.num_agpr, 0
	.set _Z32kernel_cg_group_partition_staticILj4EEvPibS0_.numbered_sgpr, 28
	.set _Z32kernel_cg_group_partition_staticILj4EEvPibS0_.num_named_barrier, 0
	.set _Z32kernel_cg_group_partition_staticILj4EEvPibS0_.private_seg_size, 0
	.set _Z32kernel_cg_group_partition_staticILj4EEvPibS0_.uses_vcc, 1
	.set _Z32kernel_cg_group_partition_staticILj4EEvPibS0_.uses_flat_scratch, 0
	.set _Z32kernel_cg_group_partition_staticILj4EEvPibS0_.has_dyn_sized_stack, 0
	.set _Z32kernel_cg_group_partition_staticILj4EEvPibS0_.has_recursion, 0
	.set _Z32kernel_cg_group_partition_staticILj4EEvPibS0_.has_indirect_call, 0
	.section	.AMDGPU.csdata,"",@progbits
; Kernel info:
; codeLenInByte = 34228
; TotalNumSgprs: 30
; NumVgprs: 37
; ScratchSize: 0
; MemoryBound: 0
; FloatMode: 240
; IeeeMode: 1
; LDSByteSize: 0 bytes/workgroup (compile time only)
; SGPRBlocks: 0
; VGPRBlocks: 4
; NumSGPRsForWavesPerEU: 30
; NumVGPRsForWavesPerEU: 37
; Occupancy: 16
; WaveLimiterHint : 1
; COMPUTE_PGM_RSRC2:SCRATCH_EN: 0
; COMPUTE_PGM_RSRC2:USER_SGPR: 2
; COMPUTE_PGM_RSRC2:TRAP_HANDLER: 0
; COMPUTE_PGM_RSRC2:TGID_X_EN: 1
; COMPUTE_PGM_RSRC2:TGID_Y_EN: 0
; COMPUTE_PGM_RSRC2:TGID_Z_EN: 0
; COMPUTE_PGM_RSRC2:TIDIG_COMP_CNT: 2
	.section	.text._Z32kernel_cg_group_partition_staticILj8EEvPibS0_,"axG",@progbits,_Z32kernel_cg_group_partition_staticILj8EEvPibS0_,comdat
	.protected	_Z32kernel_cg_group_partition_staticILj8EEvPibS0_ ; -- Begin function _Z32kernel_cg_group_partition_staticILj8EEvPibS0_
	.globl	_Z32kernel_cg_group_partition_staticILj8EEvPibS0_
	.p2align	8
	.type	_Z32kernel_cg_group_partition_staticILj8EEvPibS0_,@function
_Z32kernel_cg_group_partition_staticILj8EEvPibS0_: ; @_Z32kernel_cg_group_partition_staticILj8EEvPibS0_
; %bb.0:
	s_mov_b64 s[2:3], src_shared_base
	s_clause 0x1
	s_load_b64 s[4:5], s[0:1], 0x24
	s_load_b32 s2, s[0:1], 0x8
	v_bfe_u32 v1, v0, 10, 10
	v_bfe_u32 v2, v0, 20, 10
	s_load_b64 s[6:7], s[0:1], 0x10
	v_and_b32_e32 v0, 0x3ff, v0
	s_wait_kmcnt 0x0
	s_lshr_b32 s8, s4, 16
	s_and_b32 s4, s4, 0xffff
	v_mad_u32_u24 v1, v2, s8, v1
	s_and_b32 s2, 1, s2
	s_and_b32 s5, s5, 0xffff
	s_cmp_lg_u32 0, -1
	s_mul_i32 s20, s8, s4
	v_mad_co_u64_u32 v[26:27], null, v1, s4, v[0:1]
	s_cselect_b32 s9, 0, 0
	s_cselect_b32 s3, s3, 0
	s_cmp_eq_u32 s2, 1
	s_mul_i32 s20, s20, s5
	s_cselect_b32 s21, s7, s3
	s_wait_alu 0xfffe
	s_cselect_b32 s22, s6, s9
	v_dual_mov_b32 v31, v26 :: v_dual_mov_b32 v34, v26
	s_cmp_lt_u32 s20, 2
	s_mov_b32 s3, 0
	s_cbranch_scc1 .LBB4_6
; %bb.1:
	v_ashrrev_i32_e32 v27, 31, v26
	v_mov_b32_e32 v34, v31
	s_mov_b32 s4, s20
	s_delay_alu instid0(VALU_DEP_2) | instskip(NEXT) | instid1(VALU_DEP_1)
	v_lshlrev_b64_e32 v[0:1], 2, v[26:27]
	v_add_co_u32 v0, vcc_lo, s22, v0
	s_delay_alu instid0(VALU_DEP_1)
	v_add_co_ci_u32_e64 v1, null, s21, v1, vcc_lo
.LBB4_2:                                ; =>This Inner Loop Header: Depth=1
	s_wait_alu 0xfffe
	s_lshr_b32 s2, s4, 1
	s_mov_b32 s5, exec_lo
	flat_store_b32 v[0:1], v34
	s_wait_storecnt_dscnt 0x0
	s_barrier_signal -1
	s_barrier_wait -1
	global_inv scope:SCOPE_SE
	s_wait_alu 0xfffe
	v_cmpx_gt_i32_e64 s2, v26
	s_cbranch_execz .LBB4_4
; %bb.3:                                ;   in Loop: Header=BB4_2 Depth=1
	s_lshl_b64 s[6:7], s[2:3], 2
	s_wait_alu 0xfffe
	v_add_co_u32 v2, vcc_lo, v0, s6
	s_wait_alu 0xfffd
	v_add_co_ci_u32_e64 v3, null, s7, v1, vcc_lo
	flat_load_b32 v2, v[2:3]
	s_wait_loadcnt_dscnt 0x0
	v_add_nc_u32_e32 v34, v2, v34
.LBB4_4:                                ;   in Loop: Header=BB4_2 Depth=1
	s_wait_alu 0xfffe
	s_or_b32 exec_lo, exec_lo, s5
	s_cmp_gt_u32 s4, 3
	s_wait_loadcnt 0x0
	s_barrier_signal -1
	s_barrier_wait -1
	global_inv scope:SCOPE_SE
	s_cbranch_scc0 .LBB4_6
; %bb.5:                                ;   in Loop: Header=BB4_2 Depth=1
	s_mov_b32 s4, s2
	s_branch .LBB4_2
.LBB4_6:
	v_cmp_eq_u32_e64 s2, 0, v26
	s_add_nc_u64 s[4:5], s[0:1], 24
	s_and_saveexec_b32 s23, s2
	s_cbranch_execz .LBB4_400
; %bb.7:
	s_load_b64 s[6:7], s[4:5], 0x50
	v_mbcnt_lo_u32_b32 v33, -1, 0
	v_mov_b32_e32 v6, 0
	v_mov_b32_e32 v7, 0
	s_delay_alu instid0(VALU_DEP_3) | instskip(SKIP_1) | instid1(VALU_DEP_1)
	v_readfirstlane_b32 s3, v33
	s_wait_alu 0xf1ff
	v_cmp_eq_u32_e64 s3, s3, v33
	s_and_saveexec_b32 s8, s3
	s_cbranch_execz .LBB4_13
; %bb.8:
	v_mov_b32_e32 v0, 0
	s_mov_b32 s9, exec_lo
	s_wait_kmcnt 0x0
	global_load_b64 v[3:4], v0, s[6:7] offset:24 scope:SCOPE_SYS
	s_wait_loadcnt 0x0
	global_inv scope:SCOPE_SYS
	s_clause 0x1
	global_load_b64 v[1:2], v0, s[6:7] offset:40
	global_load_b64 v[5:6], v0, s[6:7]
	s_wait_loadcnt 0x1
	v_and_b32_e32 v2, v2, v4
	v_and_b32_e32 v1, v1, v3
	s_delay_alu instid0(VALU_DEP_2) | instskip(NEXT) | instid1(VALU_DEP_2)
	v_mul_lo_u32 v2, 24, v2
	v_mul_lo_u32 v7, 0, v1
	v_mul_hi_u32 v8, 24, v1
	v_mul_lo_u32 v1, 24, v1
	s_delay_alu instid0(VALU_DEP_3) | instskip(SKIP_1) | instid1(VALU_DEP_2)
	v_add_nc_u32_e32 v2, v2, v7
	s_wait_loadcnt 0x0
	v_add_co_u32 v1, vcc_lo, v5, v1
	s_delay_alu instid0(VALU_DEP_2) | instskip(SKIP_1) | instid1(VALU_DEP_1)
	v_add_nc_u32_e32 v2, v2, v8
	s_wait_alu 0xfffd
	v_add_co_ci_u32_e64 v2, null, v6, v2, vcc_lo
	global_load_b64 v[1:2], v[1:2], off scope:SCOPE_SYS
	s_wait_loadcnt 0x0
	global_atomic_cmpswap_b64 v[6:7], v0, v[1:4], s[6:7] offset:24 th:TH_ATOMIC_RETURN scope:SCOPE_SYS
	s_wait_loadcnt 0x0
	global_inv scope:SCOPE_SYS
	v_cmpx_ne_u64_e64 v[6:7], v[3:4]
	s_cbranch_execz .LBB4_12
; %bb.9:
	s_mov_b32 s10, 0
.LBB4_10:                               ; =>This Inner Loop Header: Depth=1
	s_sleep 1
	s_clause 0x1
	global_load_b64 v[1:2], v0, s[6:7] offset:40
	global_load_b64 v[8:9], v0, s[6:7]
	v_dual_mov_b32 v3, v6 :: v_dual_mov_b32 v4, v7
	s_wait_loadcnt 0x1
	s_delay_alu instid0(VALU_DEP_1) | instskip(NEXT) | instid1(VALU_DEP_2)
	v_and_b32_e32 v1, v1, v3
	v_and_b32_e32 v2, v2, v4
	s_wait_loadcnt 0x0
	s_delay_alu instid0(VALU_DEP_2) | instskip(NEXT) | instid1(VALU_DEP_1)
	v_mad_co_u64_u32 v[5:6], null, v1, 24, v[8:9]
	v_mov_b32_e32 v1, v6
	s_delay_alu instid0(VALU_DEP_1) | instskip(NEXT) | instid1(VALU_DEP_1)
	v_mad_co_u64_u32 v[1:2], null, v2, 24, v[1:2]
	v_mov_b32_e32 v6, v1
	global_load_b64 v[1:2], v[5:6], off scope:SCOPE_SYS
	s_wait_loadcnt 0x0
	global_atomic_cmpswap_b64 v[6:7], v0, v[1:4], s[6:7] offset:24 th:TH_ATOMIC_RETURN scope:SCOPE_SYS
	s_wait_loadcnt 0x0
	global_inv scope:SCOPE_SYS
	v_cmp_eq_u64_e32 vcc_lo, v[6:7], v[3:4]
	s_or_b32 s10, vcc_lo, s10
	s_delay_alu instid0(SALU_CYCLE_1)
	s_and_not1_b32 exec_lo, exec_lo, s10
	s_cbranch_execnz .LBB4_10
; %bb.11:
	s_or_b32 exec_lo, exec_lo, s10
.LBB4_12:
	s_wait_alu 0xfffe
	s_or_b32 exec_lo, exec_lo, s9
.LBB4_13:
	s_wait_alu 0xfffe
	s_or_b32 exec_lo, exec_lo, s8
	v_readfirstlane_b32 s8, v6
	v_mov_b32_e32 v5, 0
	v_readfirstlane_b32 s9, v7
	s_mov_b32 s10, exec_lo
	s_wait_kmcnt 0x0
	s_clause 0x1
	global_load_b64 v[8:9], v5, s[6:7] offset:40
	global_load_b128 v[0:3], v5, s[6:7]
	s_wait_loadcnt 0x1
	s_wait_alu 0xf1ff
	v_and_b32_e32 v11, s9, v9
	v_and_b32_e32 v10, s8, v8
	s_delay_alu instid0(VALU_DEP_2) | instskip(NEXT) | instid1(VALU_DEP_2)
	v_mul_lo_u32 v4, 24, v11
	v_mul_lo_u32 v6, 0, v10
	v_mul_hi_u32 v7, 24, v10
	v_mul_lo_u32 v8, 24, v10
	s_delay_alu instid0(VALU_DEP_3) | instskip(SKIP_1) | instid1(VALU_DEP_2)
	v_add_nc_u32_e32 v4, v4, v6
	s_wait_loadcnt 0x0
	v_add_co_u32 v8, vcc_lo, v0, v8
	s_delay_alu instid0(VALU_DEP_2) | instskip(SKIP_1) | instid1(VALU_DEP_1)
	v_add_nc_u32_e32 v4, v4, v7
	s_wait_alu 0xfffd
	v_add_co_ci_u32_e64 v9, null, v1, v4, vcc_lo
	s_and_saveexec_b32 s11, s3
	s_cbranch_execz .LBB4_15
; %bb.14:
	v_dual_mov_b32 v4, s10 :: v_dual_mov_b32 v7, 1
	v_mov_b32_e32 v6, 2
	global_store_b128 v[8:9], v[4:7], off offset:8
.LBB4_15:
	s_or_b32 exec_lo, exec_lo, s11
	v_lshlrev_b64_e32 v[10:11], 12, v[10:11]
	v_dual_mov_b32 v7, v5 :: v_dual_lshlrev_b32 v32, 6, v33
	s_mov_b32 s12, 0
	s_delay_alu instid0(SALU_CYCLE_1) | instskip(NEXT) | instid1(VALU_DEP_2)
	s_mov_b32 s13, s12
	v_add_co_u32 v2, vcc_lo, v2, v10
	s_wait_alu 0xfffd
	v_add_co_ci_u32_e64 v3, null, v3, v11, vcc_lo
	s_mov_b32 s14, s12
	v_add_co_u32 v10, vcc_lo, v2, v32
	s_mov_b32 s15, s12
	v_mov_b32_e32 v4, 33
	v_mov_b32_e32 v6, v5
	v_readfirstlane_b32 s10, v2
	v_readfirstlane_b32 s11, v3
	v_mov_b32_e32 v12, s12
	s_wait_alu 0xfffd
	v_add_co_ci_u32_e64 v11, null, 0, v3, vcc_lo
	v_dual_mov_b32 v13, s13 :: v_dual_mov_b32 v14, s14
	v_mov_b32_e32 v15, s15
	s_clause 0x3
	global_store_b128 v32, v[4:7], s[10:11]
	global_store_b128 v32, v[12:15], s[10:11] offset:16
	global_store_b128 v32, v[12:15], s[10:11] offset:32
	;; [unrolled: 1-line block ×3, first 2 shown]
	s_and_saveexec_b32 s10, s3
	s_cbranch_execz .LBB4_22
; %bb.16:
	v_mov_b32_e32 v6, 0
	s_mov_b32 s11, exec_lo
	s_clause 0x1
	global_load_b64 v[14:15], v6, s[6:7] offset:32 scope:SCOPE_SYS
	global_load_b64 v[2:3], v6, s[6:7] offset:40
	v_dual_mov_b32 v13, s9 :: v_dual_mov_b32 v12, s8
	s_wait_loadcnt 0x0
	v_and_b32_e32 v3, s9, v3
	v_and_b32_e32 v2, s8, v2
	s_delay_alu instid0(VALU_DEP_2) | instskip(NEXT) | instid1(VALU_DEP_2)
	v_mul_lo_u32 v3, 24, v3
	v_mul_lo_u32 v4, 0, v2
	v_mul_hi_u32 v5, 24, v2
	v_mul_lo_u32 v2, 24, v2
	s_delay_alu instid0(VALU_DEP_3) | instskip(NEXT) | instid1(VALU_DEP_2)
	v_add_nc_u32_e32 v3, v3, v4
	v_add_co_u32 v4, vcc_lo, v0, v2
	s_delay_alu instid0(VALU_DEP_2) | instskip(SKIP_1) | instid1(VALU_DEP_1)
	v_add_nc_u32_e32 v3, v3, v5
	s_wait_alu 0xfffd
	v_add_co_ci_u32_e64 v5, null, v1, v3, vcc_lo
	global_store_b64 v[4:5], v[14:15], off
	global_wb scope:SCOPE_SYS
	s_wait_storecnt 0x0
	global_atomic_cmpswap_b64 v[2:3], v6, v[12:15], s[6:7] offset:32 th:TH_ATOMIC_RETURN scope:SCOPE_SYS
	s_wait_loadcnt 0x0
	v_cmpx_ne_u64_e64 v[2:3], v[14:15]
	s_cbranch_execz .LBB4_18
.LBB4_17:                               ; =>This Inner Loop Header: Depth=1
	v_dual_mov_b32 v0, s8 :: v_dual_mov_b32 v1, s9
	s_sleep 1
	global_store_b64 v[4:5], v[2:3], off
	global_wb scope:SCOPE_SYS
	s_wait_storecnt 0x0
	global_atomic_cmpswap_b64 v[0:1], v6, v[0:3], s[6:7] offset:32 th:TH_ATOMIC_RETURN scope:SCOPE_SYS
	s_wait_loadcnt 0x0
	v_cmp_eq_u64_e32 vcc_lo, v[0:1], v[2:3]
	v_dual_mov_b32 v3, v1 :: v_dual_mov_b32 v2, v0
	s_or_b32 s12, vcc_lo, s12
	s_wait_alu 0xfffe
	s_and_not1_b32 exec_lo, exec_lo, s12
	s_cbranch_execnz .LBB4_17
.LBB4_18:
	s_wait_alu 0xfffe
	s_or_b32 exec_lo, exec_lo, s11
	v_mov_b32_e32 v3, 0
	s_mov_b32 s12, exec_lo
	s_mov_b32 s11, exec_lo
	s_wait_alu 0xfffe
	v_mbcnt_lo_u32_b32 v2, s12, 0
	global_load_b64 v[0:1], v3, s[6:7] offset:16
	v_cmpx_eq_u32_e32 0, v2
	s_cbranch_execz .LBB4_20
; %bb.19:
	s_bcnt1_i32_b32 s12, s12
	s_wait_alu 0xfffe
	v_mov_b32_e32 v2, s12
	global_wb scope:SCOPE_SYS
	s_wait_loadcnt 0x0
	s_wait_storecnt 0x0
	global_atomic_add_u64 v[0:1], v[2:3], off offset:8 scope:SCOPE_SYS
.LBB4_20:
	s_or_b32 exec_lo, exec_lo, s11
	s_wait_loadcnt 0x0
	global_load_b64 v[2:3], v[0:1], off offset:16
	s_wait_loadcnt 0x0
	v_cmp_eq_u64_e32 vcc_lo, 0, v[2:3]
	s_cbranch_vccnz .LBB4_22
; %bb.21:
	global_load_b32 v0, v[0:1], off offset:24
	v_mov_b32_e32 v1, 0
	s_wait_loadcnt 0x0
	v_readfirstlane_b32 s11, v0
	global_wb scope:SCOPE_SYS
	s_wait_storecnt 0x0
	global_store_b64 v[2:3], v[0:1], off scope:SCOPE_SYS
	s_and_b32 m0, s11, 0xffffff
	s_sendmsg sendmsg(MSG_INTERRUPT)
.LBB4_22:
	s_wait_alu 0xfffe
	s_or_b32 exec_lo, exec_lo, s10
	s_branch .LBB4_26
.LBB4_23:                               ;   in Loop: Header=BB4_26 Depth=1
	s_wait_alu 0xfffe
	s_or_b32 exec_lo, exec_lo, s10
	s_delay_alu instid0(VALU_DEP_1)
	v_readfirstlane_b32 s10, v0
	s_cmp_eq_u32 s10, 0
	s_cbranch_scc1 .LBB4_25
; %bb.24:                               ;   in Loop: Header=BB4_26 Depth=1
	s_sleep 1
	s_cbranch_execnz .LBB4_26
	s_branch .LBB4_28
.LBB4_25:
	s_branch .LBB4_28
.LBB4_26:                               ; =>This Inner Loop Header: Depth=1
	v_mov_b32_e32 v0, 1
	s_and_saveexec_b32 s10, s3
	s_cbranch_execz .LBB4_23
; %bb.27:                               ;   in Loop: Header=BB4_26 Depth=1
	global_load_b32 v0, v[8:9], off offset:20 scope:SCOPE_SYS
	s_wait_loadcnt 0x0
	global_inv scope:SCOPE_SYS
	v_and_b32_e32 v0, 1, v0
	s_branch .LBB4_23
.LBB4_28:
	global_load_b64 v[0:1], v[10:11], off
	s_and_saveexec_b32 s10, s3
	s_cbranch_execz .LBB4_32
; %bb.29:
	v_mov_b32_e32 v8, 0
	s_clause 0x2
	global_load_b64 v[2:3], v8, s[6:7] offset:40
	global_load_b64 v[11:12], v8, s[6:7] offset:24 scope:SCOPE_SYS
	global_load_b64 v[4:5], v8, s[6:7]
	s_wait_loadcnt 0x2
	v_readfirstlane_b32 s12, v2
	v_readfirstlane_b32 s13, v3
	s_add_nc_u64 s[14:15], s[12:13], 1
	s_wait_alu 0xfffe
	s_add_nc_u64 s[8:9], s[14:15], s[8:9]
	s_wait_alu 0xfffe
	s_cmp_eq_u64 s[8:9], 0
	s_cselect_b32 s9, s15, s9
	s_cselect_b32 s8, s14, s8
	s_wait_alu 0xfffe
	v_mov_b32_e32 v10, s9
	s_and_b64 s[12:13], s[8:9], s[12:13]
	v_mov_b32_e32 v9, s8
	s_wait_alu 0xfffe
	s_mul_u64 s[12:13], s[12:13], 24
	s_wait_loadcnt 0x0
	s_wait_alu 0xfffe
	v_add_co_u32 v6, vcc_lo, v4, s12
	s_wait_alu 0xfffd
	v_add_co_ci_u32_e64 v7, null, s13, v5, vcc_lo
	global_store_b64 v[6:7], v[11:12], off
	global_wb scope:SCOPE_SYS
	s_wait_storecnt 0x0
	global_atomic_cmpswap_b64 v[4:5], v8, v[9:12], s[6:7] offset:24 th:TH_ATOMIC_RETURN scope:SCOPE_SYS
	s_wait_loadcnt 0x0
	v_cmp_ne_u64_e32 vcc_lo, v[4:5], v[11:12]
	s_and_b32 exec_lo, exec_lo, vcc_lo
	s_cbranch_execz .LBB4_32
; %bb.30:
	s_mov_b32 s3, 0
.LBB4_31:                               ; =>This Inner Loop Header: Depth=1
	v_dual_mov_b32 v2, s8 :: v_dual_mov_b32 v3, s9
	s_sleep 1
	global_store_b64 v[6:7], v[4:5], off
	global_wb scope:SCOPE_SYS
	s_wait_storecnt 0x0
	global_atomic_cmpswap_b64 v[2:3], v8, v[2:5], s[6:7] offset:24 th:TH_ATOMIC_RETURN scope:SCOPE_SYS
	s_wait_loadcnt 0x0
	v_cmp_eq_u64_e32 vcc_lo, v[2:3], v[4:5]
	v_dual_mov_b32 v5, v3 :: v_dual_mov_b32 v4, v2
	s_wait_alu 0xfffe
	s_or_b32 s3, vcc_lo, s3
	s_wait_alu 0xfffe
	s_and_not1_b32 exec_lo, exec_lo, s3
	s_cbranch_execnz .LBB4_31
.LBB4_32:
	s_wait_alu 0xfffe
	s_or_b32 exec_lo, exec_lo, s10
	s_getpc_b64 s[8:9]
	s_wait_alu 0xfffe
	s_sext_i32_i16 s9, s9
	s_add_co_u32 s8, s8, .str.8@rel32@lo+12
	s_wait_alu 0xfffe
	s_add_co_ci_u32 s9, s9, .str.8@rel32@hi+24
	s_wait_alu 0xfffe
	s_cmp_lg_u64 s[8:9], 0
	s_cbranch_scc0 .LBB4_111
; %bb.33:
	s_wait_loadcnt 0x0
	v_dual_mov_b32 v8, 2 :: v_dual_and_b32 v35, 2, v0
	v_dual_mov_b32 v7, 0 :: v_dual_and_b32 v2, -3, v0
	v_mov_b32_e32 v3, v1
	v_mov_b32_e32 v9, 1
	s_mov_b64 s[10:11], 0x4d
	s_branch .LBB4_35
.LBB4_34:                               ;   in Loop: Header=BB4_35 Depth=1
	s_wait_alu 0xfffe
	s_or_b32 exec_lo, exec_lo, s16
	s_sub_nc_u64 s[10:11], s[10:11], s[12:13]
	s_add_nc_u64 s[8:9], s[8:9], s[12:13]
	s_wait_alu 0xfffe
	s_cmp_lg_u64 s[10:11], 0
	s_cbranch_scc0 .LBB4_110
.LBB4_35:                               ; =>This Loop Header: Depth=1
                                        ;     Child Loop BB4_38 Depth 2
                                        ;     Child Loop BB4_45 Depth 2
	;; [unrolled: 1-line block ×11, first 2 shown]
	s_wait_alu 0xfffe
	v_cmp_lt_u64_e64 s3, s[10:11], 56
	v_cmp_gt_u64_e64 s14, s[10:11], 7
	s_and_b32 s3, s3, exec_lo
	s_cselect_b32 s13, s11, 0
	s_cselect_b32 s12, s10, 56
	s_and_b32 vcc_lo, exec_lo, s14
	s_wait_alu 0xfffe
	s_cbranch_vccnz .LBB4_40
; %bb.36:                               ;   in Loop: Header=BB4_35 Depth=1
	v_mov_b32_e32 v4, 0
	v_mov_b32_e32 v5, 0
	s_cmp_eq_u64 s[10:11], 0
	s_cbranch_scc1 .LBB4_39
; %bb.37:                               ;   in Loop: Header=BB4_35 Depth=1
	s_mov_b64 s[14:15], 0
	s_mov_b64 s[16:17], 0
.LBB4_38:                               ;   Parent Loop BB4_35 Depth=1
                                        ; =>  This Inner Loop Header: Depth=2
	s_wait_alu 0xfffe
	s_add_nc_u64 s[18:19], s[8:9], s[16:17]
	s_add_nc_u64 s[16:17], s[16:17], 1
	global_load_u8 v6, v7, s[18:19]
	s_wait_alu 0xfffe
	s_cmp_lg_u32 s12, s16
	s_wait_loadcnt 0x0
	v_and_b32_e32 v6, 0xffff, v6
	s_delay_alu instid0(VALU_DEP_1) | instskip(SKIP_1) | instid1(VALU_DEP_1)
	v_lshlrev_b64_e32 v[10:11], s14, v[6:7]
	s_add_nc_u64 s[14:15], s[14:15], 8
	v_or_b32_e32 v4, v10, v4
	s_delay_alu instid0(VALU_DEP_2)
	v_or_b32_e32 v5, v11, v5
	s_cbranch_scc1 .LBB4_38
.LBB4_39:                               ;   in Loop: Header=BB4_35 Depth=1
	s_mov_b64 s[16:17], s[8:9]
	s_mov_b32 s3, 0
	s_cbranch_execz .LBB4_41
	s_branch .LBB4_42
.LBB4_40:                               ;   in Loop: Header=BB4_35 Depth=1
	s_add_nc_u64 s[16:17], s[8:9], 8
	s_mov_b32 s3, 0
.LBB4_41:                               ;   in Loop: Header=BB4_35 Depth=1
	global_load_b64 v[4:5], v7, s[8:9]
	s_add_co_i32 s3, s12, -8
.LBB4_42:                               ;   in Loop: Header=BB4_35 Depth=1
	s_wait_alu 0xfffe
	s_cmp_gt_u32 s3, 7
	s_cbranch_scc1 .LBB4_47
; %bb.43:                               ;   in Loop: Header=BB4_35 Depth=1
	v_mov_b32_e32 v10, 0
	v_mov_b32_e32 v11, 0
	s_cmp_eq_u32 s3, 0
	s_cbranch_scc1 .LBB4_46
; %bb.44:                               ;   in Loop: Header=BB4_35 Depth=1
	s_mov_b64 s[14:15], 0
	s_mov_b64 s[18:19], 0
.LBB4_45:                               ;   Parent Loop BB4_35 Depth=1
                                        ; =>  This Inner Loop Header: Depth=2
	s_wait_alu 0xfffe
	s_add_nc_u64 s[24:25], s[16:17], s[18:19]
	s_add_nc_u64 s[18:19], s[18:19], 1
	global_load_u8 v6, v7, s[24:25]
	s_wait_alu 0xfffe
	s_cmp_lg_u32 s3, s18
	s_wait_loadcnt 0x0
	v_and_b32_e32 v6, 0xffff, v6
	s_delay_alu instid0(VALU_DEP_1) | instskip(SKIP_1) | instid1(VALU_DEP_1)
	v_lshlrev_b64_e32 v[12:13], s14, v[6:7]
	s_add_nc_u64 s[14:15], s[14:15], 8
	v_or_b32_e32 v10, v12, v10
	s_delay_alu instid0(VALU_DEP_2)
	v_or_b32_e32 v11, v13, v11
	s_cbranch_scc1 .LBB4_45
.LBB4_46:                               ;   in Loop: Header=BB4_35 Depth=1
	s_mov_b64 s[14:15], s[16:17]
	s_mov_b32 s24, 0
	s_cbranch_execz .LBB4_48
	s_branch .LBB4_49
.LBB4_47:                               ;   in Loop: Header=BB4_35 Depth=1
	s_add_nc_u64 s[14:15], s[16:17], 8
                                        ; implicit-def: $vgpr10_vgpr11
	s_mov_b32 s24, 0
.LBB4_48:                               ;   in Loop: Header=BB4_35 Depth=1
	global_load_b64 v[10:11], v7, s[16:17]
	s_add_co_i32 s24, s3, -8
.LBB4_49:                               ;   in Loop: Header=BB4_35 Depth=1
	s_delay_alu instid0(SALU_CYCLE_1)
	s_cmp_gt_u32 s24, 7
	s_cbranch_scc1 .LBB4_54
; %bb.50:                               ;   in Loop: Header=BB4_35 Depth=1
	v_mov_b32_e32 v12, 0
	v_mov_b32_e32 v13, 0
	s_cmp_eq_u32 s24, 0
	s_cbranch_scc1 .LBB4_53
; %bb.51:                               ;   in Loop: Header=BB4_35 Depth=1
	s_mov_b64 s[16:17], 0
	s_mov_b64 s[18:19], 0
.LBB4_52:                               ;   Parent Loop BB4_35 Depth=1
                                        ; =>  This Inner Loop Header: Depth=2
	s_wait_alu 0xfffe
	s_add_nc_u64 s[26:27], s[14:15], s[18:19]
	s_add_nc_u64 s[18:19], s[18:19], 1
	global_load_u8 v6, v7, s[26:27]
	s_wait_alu 0xfffe
	s_cmp_lg_u32 s24, s18
	s_wait_loadcnt 0x0
	v_and_b32_e32 v6, 0xffff, v6
	s_delay_alu instid0(VALU_DEP_1) | instskip(SKIP_1) | instid1(VALU_DEP_1)
	v_lshlrev_b64_e32 v[14:15], s16, v[6:7]
	s_add_nc_u64 s[16:17], s[16:17], 8
	v_or_b32_e32 v12, v14, v12
	s_delay_alu instid0(VALU_DEP_2)
	v_or_b32_e32 v13, v15, v13
	s_cbranch_scc1 .LBB4_52
.LBB4_53:                               ;   in Loop: Header=BB4_35 Depth=1
	s_wait_alu 0xfffe
	s_mov_b64 s[16:17], s[14:15]
	s_mov_b32 s3, 0
	s_cbranch_execz .LBB4_55
	s_branch .LBB4_56
.LBB4_54:                               ;   in Loop: Header=BB4_35 Depth=1
	s_wait_alu 0xfffe
	s_add_nc_u64 s[16:17], s[14:15], 8
	s_mov_b32 s3, 0
.LBB4_55:                               ;   in Loop: Header=BB4_35 Depth=1
	global_load_b64 v[12:13], v7, s[14:15]
	s_add_co_i32 s3, s24, -8
.LBB4_56:                               ;   in Loop: Header=BB4_35 Depth=1
	s_wait_alu 0xfffe
	s_cmp_gt_u32 s3, 7
	s_cbranch_scc1 .LBB4_61
; %bb.57:                               ;   in Loop: Header=BB4_35 Depth=1
	v_mov_b32_e32 v14, 0
	v_mov_b32_e32 v15, 0
	s_cmp_eq_u32 s3, 0
	s_cbranch_scc1 .LBB4_60
; %bb.58:                               ;   in Loop: Header=BB4_35 Depth=1
	s_mov_b64 s[14:15], 0
	s_mov_b64 s[18:19], 0
.LBB4_59:                               ;   Parent Loop BB4_35 Depth=1
                                        ; =>  This Inner Loop Header: Depth=2
	s_wait_alu 0xfffe
	s_add_nc_u64 s[24:25], s[16:17], s[18:19]
	s_add_nc_u64 s[18:19], s[18:19], 1
	global_load_u8 v6, v7, s[24:25]
	s_wait_alu 0xfffe
	s_cmp_lg_u32 s3, s18
	s_wait_loadcnt 0x0
	v_and_b32_e32 v6, 0xffff, v6
	s_delay_alu instid0(VALU_DEP_1) | instskip(SKIP_1) | instid1(VALU_DEP_1)
	v_lshlrev_b64_e32 v[16:17], s14, v[6:7]
	s_add_nc_u64 s[14:15], s[14:15], 8
	v_or_b32_e32 v14, v16, v14
	s_delay_alu instid0(VALU_DEP_2)
	v_or_b32_e32 v15, v17, v15
	s_cbranch_scc1 .LBB4_59
.LBB4_60:                               ;   in Loop: Header=BB4_35 Depth=1
	s_mov_b64 s[14:15], s[16:17]
	s_mov_b32 s24, 0
	s_cbranch_execz .LBB4_62
	s_branch .LBB4_63
.LBB4_61:                               ;   in Loop: Header=BB4_35 Depth=1
	s_add_nc_u64 s[14:15], s[16:17], 8
                                        ; implicit-def: $vgpr14_vgpr15
	s_mov_b32 s24, 0
.LBB4_62:                               ;   in Loop: Header=BB4_35 Depth=1
	global_load_b64 v[14:15], v7, s[16:17]
	s_add_co_i32 s24, s3, -8
.LBB4_63:                               ;   in Loop: Header=BB4_35 Depth=1
	s_delay_alu instid0(SALU_CYCLE_1)
	s_cmp_gt_u32 s24, 7
	s_cbranch_scc1 .LBB4_68
; %bb.64:                               ;   in Loop: Header=BB4_35 Depth=1
	v_mov_b32_e32 v16, 0
	v_mov_b32_e32 v17, 0
	s_cmp_eq_u32 s24, 0
	s_cbranch_scc1 .LBB4_67
; %bb.65:                               ;   in Loop: Header=BB4_35 Depth=1
	s_mov_b64 s[16:17], 0
	s_mov_b64 s[18:19], 0
.LBB4_66:                               ;   Parent Loop BB4_35 Depth=1
                                        ; =>  This Inner Loop Header: Depth=2
	s_wait_alu 0xfffe
	s_add_nc_u64 s[26:27], s[14:15], s[18:19]
	s_add_nc_u64 s[18:19], s[18:19], 1
	global_load_u8 v6, v7, s[26:27]
	s_wait_alu 0xfffe
	s_cmp_lg_u32 s24, s18
	s_wait_loadcnt 0x0
	v_and_b32_e32 v6, 0xffff, v6
	s_delay_alu instid0(VALU_DEP_1) | instskip(SKIP_1) | instid1(VALU_DEP_1)
	v_lshlrev_b64_e32 v[18:19], s16, v[6:7]
	s_add_nc_u64 s[16:17], s[16:17], 8
	v_or_b32_e32 v16, v18, v16
	s_delay_alu instid0(VALU_DEP_2)
	v_or_b32_e32 v17, v19, v17
	s_cbranch_scc1 .LBB4_66
.LBB4_67:                               ;   in Loop: Header=BB4_35 Depth=1
	s_wait_alu 0xfffe
	s_mov_b64 s[16:17], s[14:15]
	s_mov_b32 s3, 0
	s_cbranch_execz .LBB4_69
	s_branch .LBB4_70
.LBB4_68:                               ;   in Loop: Header=BB4_35 Depth=1
	s_wait_alu 0xfffe
	s_add_nc_u64 s[16:17], s[14:15], 8
	s_mov_b32 s3, 0
.LBB4_69:                               ;   in Loop: Header=BB4_35 Depth=1
	global_load_b64 v[16:17], v7, s[14:15]
	s_add_co_i32 s3, s24, -8
.LBB4_70:                               ;   in Loop: Header=BB4_35 Depth=1
	s_wait_alu 0xfffe
	s_cmp_gt_u32 s3, 7
	s_cbranch_scc1 .LBB4_75
; %bb.71:                               ;   in Loop: Header=BB4_35 Depth=1
	v_mov_b32_e32 v18, 0
	v_mov_b32_e32 v19, 0
	s_cmp_eq_u32 s3, 0
	s_cbranch_scc1 .LBB4_74
; %bb.72:                               ;   in Loop: Header=BB4_35 Depth=1
	s_mov_b64 s[14:15], 0
	s_mov_b64 s[18:19], 0
.LBB4_73:                               ;   Parent Loop BB4_35 Depth=1
                                        ; =>  This Inner Loop Header: Depth=2
	s_wait_alu 0xfffe
	s_add_nc_u64 s[24:25], s[16:17], s[18:19]
	s_add_nc_u64 s[18:19], s[18:19], 1
	global_load_u8 v6, v7, s[24:25]
	s_wait_alu 0xfffe
	s_cmp_lg_u32 s3, s18
	s_wait_loadcnt 0x0
	v_and_b32_e32 v6, 0xffff, v6
	s_delay_alu instid0(VALU_DEP_1) | instskip(SKIP_1) | instid1(VALU_DEP_1)
	v_lshlrev_b64_e32 v[20:21], s14, v[6:7]
	s_add_nc_u64 s[14:15], s[14:15], 8
	v_or_b32_e32 v18, v20, v18
	s_delay_alu instid0(VALU_DEP_2)
	v_or_b32_e32 v19, v21, v19
	s_cbranch_scc1 .LBB4_73
.LBB4_74:                               ;   in Loop: Header=BB4_35 Depth=1
	s_mov_b64 s[14:15], s[16:17]
	s_mov_b32 s24, 0
	s_cbranch_execz .LBB4_76
	s_branch .LBB4_77
.LBB4_75:                               ;   in Loop: Header=BB4_35 Depth=1
	s_add_nc_u64 s[14:15], s[16:17], 8
                                        ; implicit-def: $vgpr18_vgpr19
	s_mov_b32 s24, 0
.LBB4_76:                               ;   in Loop: Header=BB4_35 Depth=1
	global_load_b64 v[18:19], v7, s[16:17]
	s_add_co_i32 s24, s3, -8
.LBB4_77:                               ;   in Loop: Header=BB4_35 Depth=1
	s_delay_alu instid0(SALU_CYCLE_1)
	s_cmp_gt_u32 s24, 7
	s_cbranch_scc1 .LBB4_82
; %bb.78:                               ;   in Loop: Header=BB4_35 Depth=1
	v_mov_b32_e32 v20, 0
	v_mov_b32_e32 v21, 0
	s_cmp_eq_u32 s24, 0
	s_cbranch_scc1 .LBB4_81
; %bb.79:                               ;   in Loop: Header=BB4_35 Depth=1
	s_mov_b64 s[16:17], 0
	s_wait_alu 0xfffe
	s_mov_b64 s[18:19], s[14:15]
.LBB4_80:                               ;   Parent Loop BB4_35 Depth=1
                                        ; =>  This Inner Loop Header: Depth=2
	global_load_u8 v6, v7, s[18:19]
	s_add_co_i32 s24, s24, -1
	s_wait_alu 0xfffe
	s_add_nc_u64 s[18:19], s[18:19], 1
	s_cmp_lg_u32 s24, 0
	s_wait_loadcnt 0x0
	v_and_b32_e32 v6, 0xffff, v6
	s_delay_alu instid0(VALU_DEP_1) | instskip(SKIP_1) | instid1(VALU_DEP_1)
	v_lshlrev_b64_e32 v[22:23], s16, v[6:7]
	s_add_nc_u64 s[16:17], s[16:17], 8
	v_or_b32_e32 v20, v22, v20
	s_delay_alu instid0(VALU_DEP_2)
	v_or_b32_e32 v21, v23, v21
	s_cbranch_scc1 .LBB4_80
.LBB4_81:                               ;   in Loop: Header=BB4_35 Depth=1
	s_cbranch_execz .LBB4_83
	s_branch .LBB4_84
.LBB4_82:                               ;   in Loop: Header=BB4_35 Depth=1
.LBB4_83:                               ;   in Loop: Header=BB4_35 Depth=1
	global_load_b64 v[20:21], v7, s[14:15]
.LBB4_84:                               ;   in Loop: Header=BB4_35 Depth=1
	v_readfirstlane_b32 s3, v33
	v_mov_b32_e32 v27, 0
	v_mov_b32_e32 v28, 0
	s_wait_alu 0xf1ff
	s_delay_alu instid0(VALU_DEP_3)
	v_cmp_eq_u32_e64 s3, s3, v33
	s_and_saveexec_b32 s14, s3
	s_cbranch_execz .LBB4_90
; %bb.85:                               ;   in Loop: Header=BB4_35 Depth=1
	global_load_b64 v[24:25], v7, s[6:7] offset:24 scope:SCOPE_SYS
	s_wait_loadcnt 0x0
	global_inv scope:SCOPE_SYS
	s_clause 0x1
	global_load_b64 v[22:23], v7, s[6:7] offset:40
	global_load_b64 v[27:28], v7, s[6:7]
	s_mov_b32 s15, exec_lo
	s_wait_loadcnt 0x1
	v_and_b32_e32 v6, v23, v25
	v_and_b32_e32 v22, v22, v24
	s_delay_alu instid0(VALU_DEP_2) | instskip(NEXT) | instid1(VALU_DEP_2)
	v_mul_lo_u32 v6, 24, v6
	v_mul_lo_u32 v23, 0, v22
	v_mul_hi_u32 v29, 24, v22
	v_mul_lo_u32 v22, 24, v22
	s_delay_alu instid0(VALU_DEP_3) | instskip(SKIP_1) | instid1(VALU_DEP_2)
	v_add_nc_u32_e32 v6, v6, v23
	s_wait_loadcnt 0x0
	v_add_co_u32 v22, vcc_lo, v27, v22
	s_delay_alu instid0(VALU_DEP_2) | instskip(SKIP_1) | instid1(VALU_DEP_1)
	v_add_nc_u32_e32 v6, v6, v29
	s_wait_alu 0xfffd
	v_add_co_ci_u32_e64 v23, null, v28, v6, vcc_lo
	global_load_b64 v[22:23], v[22:23], off scope:SCOPE_SYS
	s_wait_loadcnt 0x0
	global_atomic_cmpswap_b64 v[27:28], v7, v[22:25], s[6:7] offset:24 th:TH_ATOMIC_RETURN scope:SCOPE_SYS
	s_wait_loadcnt 0x0
	global_inv scope:SCOPE_SYS
	v_cmpx_ne_u64_e64 v[27:28], v[24:25]
	s_cbranch_execz .LBB4_89
; %bb.86:                               ;   in Loop: Header=BB4_35 Depth=1
	s_mov_b32 s16, 0
.LBB4_87:                               ;   Parent Loop BB4_35 Depth=1
                                        ; =>  This Inner Loop Header: Depth=2
	s_sleep 1
	s_clause 0x1
	global_load_b64 v[22:23], v7, s[6:7] offset:40
	global_load_b64 v[29:30], v7, s[6:7]
	v_dual_mov_b32 v24, v27 :: v_dual_mov_b32 v25, v28
	s_wait_loadcnt 0x1
	s_delay_alu instid0(VALU_DEP_1) | instskip(NEXT) | instid1(VALU_DEP_2)
	v_and_b32_e32 v6, v22, v24
	v_and_b32_e32 v22, v23, v25
	s_wait_loadcnt 0x0
	s_delay_alu instid0(VALU_DEP_2) | instskip(NEXT) | instid1(VALU_DEP_1)
	v_mad_co_u64_u32 v[27:28], null, v6, 24, v[29:30]
	v_mov_b32_e32 v6, v28
	s_delay_alu instid0(VALU_DEP_1) | instskip(NEXT) | instid1(VALU_DEP_1)
	v_mad_co_u64_u32 v[22:23], null, v22, 24, v[6:7]
	v_mov_b32_e32 v28, v22
	global_load_b64 v[22:23], v[27:28], off scope:SCOPE_SYS
	s_wait_loadcnt 0x0
	global_atomic_cmpswap_b64 v[27:28], v7, v[22:25], s[6:7] offset:24 th:TH_ATOMIC_RETURN scope:SCOPE_SYS
	s_wait_loadcnt 0x0
	global_inv scope:SCOPE_SYS
	v_cmp_eq_u64_e32 vcc_lo, v[27:28], v[24:25]
	s_wait_alu 0xfffe
	s_or_b32 s16, vcc_lo, s16
	s_wait_alu 0xfffe
	s_and_not1_b32 exec_lo, exec_lo, s16
	s_cbranch_execnz .LBB4_87
; %bb.88:                               ;   in Loop: Header=BB4_35 Depth=1
	s_or_b32 exec_lo, exec_lo, s16
.LBB4_89:                               ;   in Loop: Header=BB4_35 Depth=1
	s_wait_alu 0xfffe
	s_or_b32 exec_lo, exec_lo, s15
.LBB4_90:                               ;   in Loop: Header=BB4_35 Depth=1
	s_wait_alu 0xfffe
	s_or_b32 exec_lo, exec_lo, s14
	s_clause 0x1
	global_load_b64 v[29:30], v7, s[6:7] offset:40
	global_load_b128 v[22:25], v7, s[6:7]
	v_readfirstlane_b32 s15, v28
	v_readfirstlane_b32 s14, v27
	s_mov_b32 s16, exec_lo
	s_wait_loadcnt 0x1
	s_wait_alu 0xf1ff
	v_and_b32_e32 v30, s15, v30
	v_and_b32_e32 v29, s14, v29
	s_delay_alu instid0(VALU_DEP_2) | instskip(NEXT) | instid1(VALU_DEP_2)
	v_mul_lo_u32 v6, 24, v30
	v_mul_lo_u32 v27, 0, v29
	v_mul_hi_u32 v28, 24, v29
	v_mul_lo_u32 v36, 24, v29
	s_delay_alu instid0(VALU_DEP_3) | instskip(SKIP_1) | instid1(VALU_DEP_2)
	v_add_nc_u32_e32 v6, v6, v27
	s_wait_loadcnt 0x0
	v_add_co_u32 v27, vcc_lo, v22, v36
	s_delay_alu instid0(VALU_DEP_2) | instskip(SKIP_1) | instid1(VALU_DEP_1)
	v_add_nc_u32_e32 v6, v6, v28
	s_wait_alu 0xfffd
	v_add_co_ci_u32_e64 v28, null, v23, v6, vcc_lo
	s_and_saveexec_b32 s17, s3
	s_cbranch_execz .LBB4_92
; %bb.91:                               ;   in Loop: Header=BB4_35 Depth=1
	s_wait_alu 0xfffe
	v_mov_b32_e32 v6, s16
	global_store_b128 v[27:28], v[6:9], off offset:8
.LBB4_92:                               ;   in Loop: Header=BB4_35 Depth=1
	s_wait_alu 0xfffe
	s_or_b32 exec_lo, exec_lo, s17
	v_cmp_lt_u64_e64 vcc_lo, s[10:11], 57
	v_lshlrev_b64_e32 v[29:30], 12, v[29:30]
	v_and_b32_e32 v2, 0xffffff1f, v2
	s_lshl_b32 s16, s12, 2
	s_wait_alu 0xfffe
	s_add_co_i32 s16, s16, 28
	s_wait_alu 0xfffd
	v_cndmask_b32_e32 v6, 0, v35, vcc_lo
	v_add_co_u32 v24, vcc_lo, v24, v29
	s_wait_alu 0xfffd
	v_add_co_ci_u32_e64 v25, null, v25, v30, vcc_lo
	s_delay_alu instid0(VALU_DEP_3) | instskip(NEXT) | instid1(VALU_DEP_2)
	v_or_b32_e32 v2, v2, v6
	v_readfirstlane_b32 s17, v25
	s_wait_alu 0xfffe
	s_delay_alu instid0(VALU_DEP_2)
	v_and_or_b32 v2, 0x1e0, s16, v2
	v_readfirstlane_b32 s16, v24
	s_clause 0x3
	global_store_b128 v32, v[2:5], s[16:17]
	global_store_b128 v32, v[10:13], s[16:17] offset:16
	global_store_b128 v32, v[14:17], s[16:17] offset:32
	;; [unrolled: 1-line block ×3, first 2 shown]
	s_and_saveexec_b32 s16, s3
	s_cbranch_execz .LBB4_100
; %bb.93:                               ;   in Loop: Header=BB4_35 Depth=1
	s_clause 0x1
	global_load_b64 v[14:15], v7, s[6:7] offset:32 scope:SCOPE_SYS
	global_load_b64 v[2:3], v7, s[6:7] offset:40
	s_mov_b32 s17, exec_lo
	v_dual_mov_b32 v12, s14 :: v_dual_mov_b32 v13, s15
	s_wait_loadcnt 0x0
	v_and_b32_e32 v2, s14, v2
	v_and_b32_e32 v3, s15, v3
	s_delay_alu instid0(VALU_DEP_2) | instskip(NEXT) | instid1(VALU_DEP_2)
	v_mul_lo_u32 v4, 0, v2
	v_mul_lo_u32 v3, 24, v3
	v_mul_hi_u32 v5, 24, v2
	v_mul_lo_u32 v2, 24, v2
	s_delay_alu instid0(VALU_DEP_3) | instskip(NEXT) | instid1(VALU_DEP_2)
	v_add_nc_u32_e32 v3, v3, v4
	v_add_co_u32 v10, vcc_lo, v22, v2
	s_delay_alu instid0(VALU_DEP_2) | instskip(SKIP_1) | instid1(VALU_DEP_1)
	v_add_nc_u32_e32 v3, v3, v5
	s_wait_alu 0xfffd
	v_add_co_ci_u32_e64 v11, null, v23, v3, vcc_lo
	global_store_b64 v[10:11], v[14:15], off
	global_wb scope:SCOPE_SYS
	s_wait_storecnt 0x0
	global_atomic_cmpswap_b64 v[4:5], v7, v[12:15], s[6:7] offset:32 th:TH_ATOMIC_RETURN scope:SCOPE_SYS
	s_wait_loadcnt 0x0
	v_cmpx_ne_u64_e64 v[4:5], v[14:15]
	s_cbranch_execz .LBB4_96
; %bb.94:                               ;   in Loop: Header=BB4_35 Depth=1
	s_mov_b32 s18, 0
.LBB4_95:                               ;   Parent Loop BB4_35 Depth=1
                                        ; =>  This Inner Loop Header: Depth=2
	v_dual_mov_b32 v2, s14 :: v_dual_mov_b32 v3, s15
	s_sleep 1
	global_store_b64 v[10:11], v[4:5], off
	global_wb scope:SCOPE_SYS
	s_wait_storecnt 0x0
	global_atomic_cmpswap_b64 v[2:3], v7, v[2:5], s[6:7] offset:32 th:TH_ATOMIC_RETURN scope:SCOPE_SYS
	s_wait_loadcnt 0x0
	v_cmp_eq_u64_e32 vcc_lo, v[2:3], v[4:5]
	v_dual_mov_b32 v5, v3 :: v_dual_mov_b32 v4, v2
	s_wait_alu 0xfffe
	s_or_b32 s18, vcc_lo, s18
	s_wait_alu 0xfffe
	s_and_not1_b32 exec_lo, exec_lo, s18
	s_cbranch_execnz .LBB4_95
.LBB4_96:                               ;   in Loop: Header=BB4_35 Depth=1
	s_wait_alu 0xfffe
	s_or_b32 exec_lo, exec_lo, s17
	global_load_b64 v[2:3], v7, s[6:7] offset:16
	s_mov_b32 s18, exec_lo
	s_mov_b32 s17, exec_lo
	s_wait_alu 0xfffe
	v_mbcnt_lo_u32_b32 v4, s18, 0
	s_delay_alu instid0(VALU_DEP_1)
	v_cmpx_eq_u32_e32 0, v4
	s_cbranch_execz .LBB4_98
; %bb.97:                               ;   in Loop: Header=BB4_35 Depth=1
	s_bcnt1_i32_b32 s18, s18
	s_wait_alu 0xfffe
	v_mov_b32_e32 v6, s18
	global_wb scope:SCOPE_SYS
	s_wait_loadcnt 0x0
	s_wait_storecnt 0x0
	global_atomic_add_u64 v[2:3], v[6:7], off offset:8 scope:SCOPE_SYS
.LBB4_98:                               ;   in Loop: Header=BB4_35 Depth=1
	s_wait_alu 0xfffe
	s_or_b32 exec_lo, exec_lo, s17
	s_wait_loadcnt 0x0
	global_load_b64 v[4:5], v[2:3], off offset:16
	s_wait_loadcnt 0x0
	v_cmp_eq_u64_e32 vcc_lo, 0, v[4:5]
	s_cbranch_vccnz .LBB4_100
; %bb.99:                               ;   in Loop: Header=BB4_35 Depth=1
	global_load_b32 v6, v[2:3], off offset:24
	s_wait_loadcnt 0x0
	v_readfirstlane_b32 s17, v6
	global_wb scope:SCOPE_SYS
	s_wait_storecnt 0x0
	global_store_b64 v[4:5], v[6:7], off scope:SCOPE_SYS
	s_and_b32 m0, s17, 0xffffff
	s_sendmsg sendmsg(MSG_INTERRUPT)
.LBB4_100:                              ;   in Loop: Header=BB4_35 Depth=1
	s_wait_alu 0xfffe
	s_or_b32 exec_lo, exec_lo, s16
	v_add_co_u32 v2, vcc_lo, v24, v32
	s_wait_alu 0xfffd
	v_add_co_ci_u32_e64 v3, null, 0, v25, vcc_lo
	s_branch .LBB4_104
.LBB4_101:                              ;   in Loop: Header=BB4_104 Depth=2
	s_wait_alu 0xfffe
	s_or_b32 exec_lo, exec_lo, s16
	s_delay_alu instid0(VALU_DEP_1)
	v_readfirstlane_b32 s16, v4
	s_cmp_eq_u32 s16, 0
	s_cbranch_scc1 .LBB4_103
; %bb.102:                              ;   in Loop: Header=BB4_104 Depth=2
	s_sleep 1
	s_cbranch_execnz .LBB4_104
	s_branch .LBB4_106
.LBB4_103:                              ;   in Loop: Header=BB4_35 Depth=1
	s_branch .LBB4_106
.LBB4_104:                              ;   Parent Loop BB4_35 Depth=1
                                        ; =>  This Inner Loop Header: Depth=2
	v_mov_b32_e32 v4, 1
	s_and_saveexec_b32 s16, s3
	s_cbranch_execz .LBB4_101
; %bb.105:                              ;   in Loop: Header=BB4_104 Depth=2
	global_load_b32 v4, v[27:28], off offset:20 scope:SCOPE_SYS
	s_wait_loadcnt 0x0
	global_inv scope:SCOPE_SYS
	v_and_b32_e32 v4, 1, v4
	s_branch .LBB4_101
.LBB4_106:                              ;   in Loop: Header=BB4_35 Depth=1
	global_load_b64 v[2:3], v[2:3], off
	s_and_saveexec_b32 s16, s3
	s_cbranch_execz .LBB4_34
; %bb.107:                              ;   in Loop: Header=BB4_35 Depth=1
	s_clause 0x2
	global_load_b64 v[4:5], v7, s[6:7] offset:40
	global_load_b64 v[14:15], v7, s[6:7] offset:24 scope:SCOPE_SYS
	global_load_b64 v[10:11], v7, s[6:7]
	s_wait_loadcnt 0x2
	v_readfirstlane_b32 s18, v4
	v_readfirstlane_b32 s19, v5
	s_add_nc_u64 s[24:25], s[18:19], 1
	s_delay_alu instid0(SALU_CYCLE_1)
	s_add_nc_u64 s[14:15], s[24:25], s[14:15]
	s_wait_alu 0xfffe
	s_cmp_eq_u64 s[14:15], 0
	s_cselect_b32 s15, s25, s15
	s_cselect_b32 s14, s24, s14
	s_wait_alu 0xfffe
	v_dual_mov_b32 v13, s15 :: v_dual_mov_b32 v12, s14
	s_and_b64 s[18:19], s[14:15], s[18:19]
	s_wait_alu 0xfffe
	s_mul_u64 s[18:19], s[18:19], 24
	s_wait_loadcnt 0x0
	s_wait_alu 0xfffe
	v_add_co_u32 v4, vcc_lo, v10, s18
	s_wait_alu 0xfffd
	v_add_co_ci_u32_e64 v5, null, s19, v11, vcc_lo
	global_store_b64 v[4:5], v[14:15], off
	global_wb scope:SCOPE_SYS
	s_wait_storecnt 0x0
	global_atomic_cmpswap_b64 v[12:13], v7, v[12:15], s[6:7] offset:24 th:TH_ATOMIC_RETURN scope:SCOPE_SYS
	s_wait_loadcnt 0x0
	v_cmp_ne_u64_e32 vcc_lo, v[12:13], v[14:15]
	s_and_b32 exec_lo, exec_lo, vcc_lo
	s_cbranch_execz .LBB4_34
; %bb.108:                              ;   in Loop: Header=BB4_35 Depth=1
	s_mov_b32 s3, 0
.LBB4_109:                              ;   Parent Loop BB4_35 Depth=1
                                        ; =>  This Inner Loop Header: Depth=2
	v_dual_mov_b32 v10, s14 :: v_dual_mov_b32 v11, s15
	s_sleep 1
	global_store_b64 v[4:5], v[12:13], off
	global_wb scope:SCOPE_SYS
	s_wait_storecnt 0x0
	global_atomic_cmpswap_b64 v[10:11], v7, v[10:13], s[6:7] offset:24 th:TH_ATOMIC_RETURN scope:SCOPE_SYS
	s_wait_loadcnt 0x0
	v_cmp_eq_u64_e32 vcc_lo, v[10:11], v[12:13]
	v_dual_mov_b32 v13, v11 :: v_dual_mov_b32 v12, v10
	s_wait_alu 0xfffe
	s_or_b32 s3, vcc_lo, s3
	s_wait_alu 0xfffe
	s_and_not1_b32 exec_lo, exec_lo, s3
	s_cbranch_execnz .LBB4_109
	s_branch .LBB4_34
.LBB4_110:
	s_branch .LBB4_138
.LBB4_111:
                                        ; implicit-def: $vgpr2_vgpr3
	s_cbranch_execz .LBB4_138
; %bb.112:
	v_readfirstlane_b32 s3, v33
	v_mov_b32_e32 v8, 0
	v_mov_b32_e32 v9, 0
	s_wait_alu 0xf1ff
	s_delay_alu instid0(VALU_DEP_3)
	v_cmp_eq_u32_e64 s3, s3, v33
	s_and_saveexec_b32 s8, s3
	s_cbranch_execz .LBB4_118
; %bb.113:
	s_wait_loadcnt 0x0
	v_mov_b32_e32 v2, 0
	s_mov_b32 s9, exec_lo
	global_load_b64 v[5:6], v2, s[6:7] offset:24 scope:SCOPE_SYS
	s_wait_loadcnt 0x0
	global_inv scope:SCOPE_SYS
	s_clause 0x1
	global_load_b64 v[3:4], v2, s[6:7] offset:40
	global_load_b64 v[7:8], v2, s[6:7]
	s_wait_loadcnt 0x1
	v_and_b32_e32 v4, v4, v6
	v_and_b32_e32 v3, v3, v5
	s_delay_alu instid0(VALU_DEP_2) | instskip(NEXT) | instid1(VALU_DEP_2)
	v_mul_lo_u32 v4, 24, v4
	v_mul_lo_u32 v9, 0, v3
	v_mul_hi_u32 v10, 24, v3
	v_mul_lo_u32 v3, 24, v3
	s_delay_alu instid0(VALU_DEP_3) | instskip(SKIP_1) | instid1(VALU_DEP_2)
	v_add_nc_u32_e32 v4, v4, v9
	s_wait_loadcnt 0x0
	v_add_co_u32 v3, vcc_lo, v7, v3
	s_delay_alu instid0(VALU_DEP_2) | instskip(SKIP_1) | instid1(VALU_DEP_1)
	v_add_nc_u32_e32 v4, v4, v10
	s_wait_alu 0xfffd
	v_add_co_ci_u32_e64 v4, null, v8, v4, vcc_lo
	global_load_b64 v[3:4], v[3:4], off scope:SCOPE_SYS
	s_wait_loadcnt 0x0
	global_atomic_cmpswap_b64 v[8:9], v2, v[3:6], s[6:7] offset:24 th:TH_ATOMIC_RETURN scope:SCOPE_SYS
	s_wait_loadcnt 0x0
	global_inv scope:SCOPE_SYS
	v_cmpx_ne_u64_e64 v[8:9], v[5:6]
	s_cbranch_execz .LBB4_117
; %bb.114:
	s_mov_b32 s10, 0
.LBB4_115:                              ; =>This Inner Loop Header: Depth=1
	s_sleep 1
	s_clause 0x1
	global_load_b64 v[3:4], v2, s[6:7] offset:40
	global_load_b64 v[10:11], v2, s[6:7]
	v_dual_mov_b32 v5, v8 :: v_dual_mov_b32 v6, v9
	s_wait_loadcnt 0x1
	s_delay_alu instid0(VALU_DEP_1) | instskip(NEXT) | instid1(VALU_DEP_2)
	v_and_b32_e32 v3, v3, v5
	v_and_b32_e32 v4, v4, v6
	s_wait_loadcnt 0x0
	s_delay_alu instid0(VALU_DEP_2) | instskip(NEXT) | instid1(VALU_DEP_1)
	v_mad_co_u64_u32 v[7:8], null, v3, 24, v[10:11]
	v_mov_b32_e32 v3, v8
	s_delay_alu instid0(VALU_DEP_1) | instskip(NEXT) | instid1(VALU_DEP_1)
	v_mad_co_u64_u32 v[3:4], null, v4, 24, v[3:4]
	v_mov_b32_e32 v8, v3
	global_load_b64 v[3:4], v[7:8], off scope:SCOPE_SYS
	s_wait_loadcnt 0x0
	global_atomic_cmpswap_b64 v[8:9], v2, v[3:6], s[6:7] offset:24 th:TH_ATOMIC_RETURN scope:SCOPE_SYS
	s_wait_loadcnt 0x0
	global_inv scope:SCOPE_SYS
	v_cmp_eq_u64_e32 vcc_lo, v[8:9], v[5:6]
	s_wait_alu 0xfffe
	s_or_b32 s10, vcc_lo, s10
	s_wait_alu 0xfffe
	s_and_not1_b32 exec_lo, exec_lo, s10
	s_cbranch_execnz .LBB4_115
; %bb.116:
	s_or_b32 exec_lo, exec_lo, s10
.LBB4_117:
	s_wait_alu 0xfffe
	s_or_b32 exec_lo, exec_lo, s9
.LBB4_118:
	s_wait_alu 0xfffe
	s_or_b32 exec_lo, exec_lo, s8
	v_readfirstlane_b32 s9, v9
	s_wait_loadcnt 0x0
	v_mov_b32_e32 v2, 0
	v_readfirstlane_b32 s8, v8
	s_mov_b32 s10, exec_lo
	s_clause 0x1
	global_load_b64 v[10:11], v2, s[6:7] offset:40
	global_load_b128 v[4:7], v2, s[6:7]
	s_wait_loadcnt 0x1
	s_wait_alu 0xf1ff
	v_and_b32_e32 v11, s9, v11
	v_and_b32_e32 v10, s8, v10
	s_delay_alu instid0(VALU_DEP_2) | instskip(NEXT) | instid1(VALU_DEP_2)
	v_mul_lo_u32 v3, 24, v11
	v_mul_lo_u32 v8, 0, v10
	v_mul_hi_u32 v9, 24, v10
	v_mul_lo_u32 v12, 24, v10
	s_delay_alu instid0(VALU_DEP_3) | instskip(SKIP_1) | instid1(VALU_DEP_2)
	v_add_nc_u32_e32 v3, v3, v8
	s_wait_loadcnt 0x0
	v_add_co_u32 v8, vcc_lo, v4, v12
	s_delay_alu instid0(VALU_DEP_2) | instskip(SKIP_1) | instid1(VALU_DEP_1)
	v_add_nc_u32_e32 v3, v3, v9
	s_wait_alu 0xfffd
	v_add_co_ci_u32_e64 v9, null, v5, v3, vcc_lo
	s_and_saveexec_b32 s11, s3
	s_cbranch_execz .LBB4_120
; %bb.119:
	s_wait_alu 0xfffe
	v_dual_mov_b32 v12, s10 :: v_dual_mov_b32 v13, v2
	v_dual_mov_b32 v14, 2 :: v_dual_mov_b32 v15, 1
	global_store_b128 v[8:9], v[12:15], off offset:8
.LBB4_120:
	s_wait_alu 0xfffe
	s_or_b32 exec_lo, exec_lo, s11
	v_lshlrev_b64_e32 v[10:11], 12, v[10:11]
	s_mov_b32 s12, 0
	v_and_or_b32 v0, 0xffffff1f, v0, 32
	s_wait_alu 0xfffe
	s_mov_b32 s13, s12
	s_mov_b32 s14, s12
	;; [unrolled: 1-line block ×3, first 2 shown]
	v_add_co_u32 v6, vcc_lo, v6, v10
	s_wait_alu 0xfffd
	v_add_co_ci_u32_e64 v7, null, v7, v11, vcc_lo
	v_dual_mov_b32 v3, v2 :: v_dual_mov_b32 v10, s12
	s_delay_alu instid0(VALU_DEP_3) | instskip(SKIP_1) | instid1(VALU_DEP_4)
	v_readfirstlane_b32 s10, v6
	v_add_co_u32 v6, vcc_lo, v6, v32
	v_readfirstlane_b32 s11, v7
	s_wait_alu 0xfffd
	v_add_co_ci_u32_e64 v7, null, 0, v7, vcc_lo
	s_wait_alu 0xfffe
	v_dual_mov_b32 v11, s13 :: v_dual_mov_b32 v12, s14
	v_mov_b32_e32 v13, s15
	s_clause 0x3
	global_store_b128 v32, v[0:3], s[10:11]
	global_store_b128 v32, v[10:13], s[10:11] offset:16
	global_store_b128 v32, v[10:13], s[10:11] offset:32
	global_store_b128 v32, v[10:13], s[10:11] offset:48
	s_and_saveexec_b32 s10, s3
	s_cbranch_execz .LBB4_127
; %bb.121:
	v_mov_b32_e32 v10, 0
	s_mov_b32 s11, exec_lo
	s_clause 0x1
	global_load_b64 v[13:14], v10, s[6:7] offset:32 scope:SCOPE_SYS
	global_load_b64 v[0:1], v10, s[6:7] offset:40
	v_dual_mov_b32 v11, s8 :: v_dual_mov_b32 v12, s9
	s_wait_loadcnt 0x0
	v_and_b32_e32 v1, s9, v1
	v_and_b32_e32 v0, s8, v0
	s_delay_alu instid0(VALU_DEP_2) | instskip(NEXT) | instid1(VALU_DEP_2)
	v_mul_lo_u32 v1, 24, v1
	v_mul_lo_u32 v2, 0, v0
	v_mul_hi_u32 v3, 24, v0
	v_mul_lo_u32 v0, 24, v0
	s_delay_alu instid0(VALU_DEP_3) | instskip(NEXT) | instid1(VALU_DEP_2)
	v_add_nc_u32_e32 v1, v1, v2
	v_add_co_u32 v4, vcc_lo, v4, v0
	s_delay_alu instid0(VALU_DEP_2) | instskip(SKIP_1) | instid1(VALU_DEP_1)
	v_add_nc_u32_e32 v1, v1, v3
	s_wait_alu 0xfffd
	v_add_co_ci_u32_e64 v5, null, v5, v1, vcc_lo
	global_store_b64 v[4:5], v[13:14], off
	global_wb scope:SCOPE_SYS
	s_wait_storecnt 0x0
	global_atomic_cmpswap_b64 v[2:3], v10, v[11:14], s[6:7] offset:32 th:TH_ATOMIC_RETURN scope:SCOPE_SYS
	s_wait_loadcnt 0x0
	v_cmpx_ne_u64_e64 v[2:3], v[13:14]
	s_cbranch_execz .LBB4_123
.LBB4_122:                              ; =>This Inner Loop Header: Depth=1
	v_dual_mov_b32 v0, s8 :: v_dual_mov_b32 v1, s9
	s_sleep 1
	global_store_b64 v[4:5], v[2:3], off
	global_wb scope:SCOPE_SYS
	s_wait_storecnt 0x0
	global_atomic_cmpswap_b64 v[0:1], v10, v[0:3], s[6:7] offset:32 th:TH_ATOMIC_RETURN scope:SCOPE_SYS
	s_wait_loadcnt 0x0
	v_cmp_eq_u64_e32 vcc_lo, v[0:1], v[2:3]
	v_dual_mov_b32 v3, v1 :: v_dual_mov_b32 v2, v0
	s_or_b32 s12, vcc_lo, s12
	s_wait_alu 0xfffe
	s_and_not1_b32 exec_lo, exec_lo, s12
	s_cbranch_execnz .LBB4_122
.LBB4_123:
	s_wait_alu 0xfffe
	s_or_b32 exec_lo, exec_lo, s11
	v_mov_b32_e32 v3, 0
	s_mov_b32 s12, exec_lo
	s_mov_b32 s11, exec_lo
	s_wait_alu 0xfffe
	v_mbcnt_lo_u32_b32 v2, s12, 0
	global_load_b64 v[0:1], v3, s[6:7] offset:16
	v_cmpx_eq_u32_e32 0, v2
	s_cbranch_execz .LBB4_125
; %bb.124:
	s_bcnt1_i32_b32 s12, s12
	s_wait_alu 0xfffe
	v_mov_b32_e32 v2, s12
	global_wb scope:SCOPE_SYS
	s_wait_loadcnt 0x0
	s_wait_storecnt 0x0
	global_atomic_add_u64 v[0:1], v[2:3], off offset:8 scope:SCOPE_SYS
.LBB4_125:
	s_or_b32 exec_lo, exec_lo, s11
	s_wait_loadcnt 0x0
	global_load_b64 v[2:3], v[0:1], off offset:16
	s_wait_loadcnt 0x0
	v_cmp_eq_u64_e32 vcc_lo, 0, v[2:3]
	s_cbranch_vccnz .LBB4_127
; %bb.126:
	global_load_b32 v0, v[0:1], off offset:24
	v_mov_b32_e32 v1, 0
	s_wait_loadcnt 0x0
	v_readfirstlane_b32 s11, v0
	global_wb scope:SCOPE_SYS
	s_wait_storecnt 0x0
	global_store_b64 v[2:3], v[0:1], off scope:SCOPE_SYS
	s_and_b32 m0, s11, 0xffffff
	s_sendmsg sendmsg(MSG_INTERRUPT)
.LBB4_127:
	s_wait_alu 0xfffe
	s_or_b32 exec_lo, exec_lo, s10
	s_branch .LBB4_131
.LBB4_128:                              ;   in Loop: Header=BB4_131 Depth=1
	s_wait_alu 0xfffe
	s_or_b32 exec_lo, exec_lo, s10
	s_delay_alu instid0(VALU_DEP_1)
	v_readfirstlane_b32 s10, v0
	s_cmp_eq_u32 s10, 0
	s_cbranch_scc1 .LBB4_130
; %bb.129:                              ;   in Loop: Header=BB4_131 Depth=1
	s_sleep 1
	s_cbranch_execnz .LBB4_131
	s_branch .LBB4_133
.LBB4_130:
	s_branch .LBB4_133
.LBB4_131:                              ; =>This Inner Loop Header: Depth=1
	v_mov_b32_e32 v0, 1
	s_and_saveexec_b32 s10, s3
	s_cbranch_execz .LBB4_128
; %bb.132:                              ;   in Loop: Header=BB4_131 Depth=1
	global_load_b32 v0, v[8:9], off offset:20 scope:SCOPE_SYS
	s_wait_loadcnt 0x0
	global_inv scope:SCOPE_SYS
	v_and_b32_e32 v0, 1, v0
	s_branch .LBB4_128
.LBB4_133:
	global_load_b64 v[2:3], v[6:7], off
	s_and_saveexec_b32 s10, s3
	s_cbranch_execz .LBB4_137
; %bb.134:
	v_mov_b32_e32 v8, 0
	s_clause 0x2
	global_load_b64 v[0:1], v8, s[6:7] offset:40
	global_load_b64 v[11:12], v8, s[6:7] offset:24 scope:SCOPE_SYS
	global_load_b64 v[4:5], v8, s[6:7]
	s_wait_loadcnt 0x2
	v_readfirstlane_b32 s12, v0
	v_readfirstlane_b32 s13, v1
	s_add_nc_u64 s[14:15], s[12:13], 1
	s_wait_alu 0xfffe
	s_add_nc_u64 s[8:9], s[14:15], s[8:9]
	s_wait_alu 0xfffe
	s_cmp_eq_u64 s[8:9], 0
	s_cselect_b32 s9, s15, s9
	s_cselect_b32 s8, s14, s8
	s_wait_alu 0xfffe
	v_mov_b32_e32 v10, s9
	s_and_b64 s[12:13], s[8:9], s[12:13]
	v_mov_b32_e32 v9, s8
	s_wait_alu 0xfffe
	s_mul_u64 s[12:13], s[12:13], 24
	s_wait_loadcnt 0x0
	s_wait_alu 0xfffe
	v_add_co_u32 v0, vcc_lo, v4, s12
	s_wait_alu 0xfffd
	v_add_co_ci_u32_e64 v1, null, s13, v5, vcc_lo
	global_store_b64 v[0:1], v[11:12], off
	global_wb scope:SCOPE_SYS
	s_wait_storecnt 0x0
	global_atomic_cmpswap_b64 v[6:7], v8, v[9:12], s[6:7] offset:24 th:TH_ATOMIC_RETURN scope:SCOPE_SYS
	s_wait_loadcnt 0x0
	v_cmp_ne_u64_e32 vcc_lo, v[6:7], v[11:12]
	s_and_b32 exec_lo, exec_lo, vcc_lo
	s_cbranch_execz .LBB4_137
; %bb.135:
	s_mov_b32 s3, 0
.LBB4_136:                              ; =>This Inner Loop Header: Depth=1
	v_dual_mov_b32 v4, s8 :: v_dual_mov_b32 v5, s9
	s_sleep 1
	global_store_b64 v[0:1], v[6:7], off
	global_wb scope:SCOPE_SYS
	s_wait_storecnt 0x0
	global_atomic_cmpswap_b64 v[4:5], v8, v[4:7], s[6:7] offset:24 th:TH_ATOMIC_RETURN scope:SCOPE_SYS
	s_wait_loadcnt 0x0
	v_cmp_eq_u64_e32 vcc_lo, v[4:5], v[6:7]
	v_dual_mov_b32 v7, v5 :: v_dual_mov_b32 v6, v4
	s_wait_alu 0xfffe
	s_or_b32 s3, vcc_lo, s3
	s_wait_alu 0xfffe
	s_and_not1_b32 exec_lo, exec_lo, s3
	s_cbranch_execnz .LBB4_136
.LBB4_137:
	s_wait_alu 0xfffe
	s_or_b32 exec_lo, exec_lo, s10
.LBB4_138:
	v_readfirstlane_b32 s3, v33
	s_wait_loadcnt 0x0
	v_mov_b32_e32 v0, 0
	v_mov_b32_e32 v1, 0
	s_wait_alu 0xf1ff
	v_cmp_eq_u32_e64 s3, s3, v33
	s_and_saveexec_b32 s8, s3
	s_cbranch_execz .LBB4_144
; %bb.139:
	v_mov_b32_e32 v4, 0
	s_mov_b32 s9, exec_lo
	global_load_b64 v[7:8], v4, s[6:7] offset:24 scope:SCOPE_SYS
	s_wait_loadcnt 0x0
	global_inv scope:SCOPE_SYS
	s_clause 0x1
	global_load_b64 v[0:1], v4, s[6:7] offset:40
	global_load_b64 v[5:6], v4, s[6:7]
	s_wait_loadcnt 0x1
	v_and_b32_e32 v1, v1, v8
	v_and_b32_e32 v0, v0, v7
	s_delay_alu instid0(VALU_DEP_2) | instskip(NEXT) | instid1(VALU_DEP_2)
	v_mul_lo_u32 v1, 24, v1
	v_mul_lo_u32 v9, 0, v0
	v_mul_hi_u32 v10, 24, v0
	v_mul_lo_u32 v0, 24, v0
	s_delay_alu instid0(VALU_DEP_3) | instskip(SKIP_1) | instid1(VALU_DEP_2)
	v_add_nc_u32_e32 v1, v1, v9
	s_wait_loadcnt 0x0
	v_add_co_u32 v0, vcc_lo, v5, v0
	s_delay_alu instid0(VALU_DEP_2) | instskip(SKIP_1) | instid1(VALU_DEP_1)
	v_add_nc_u32_e32 v1, v1, v10
	s_wait_alu 0xfffd
	v_add_co_ci_u32_e64 v1, null, v6, v1, vcc_lo
	global_load_b64 v[5:6], v[0:1], off scope:SCOPE_SYS
	s_wait_loadcnt 0x0
	global_atomic_cmpswap_b64 v[0:1], v4, v[5:8], s[6:7] offset:24 th:TH_ATOMIC_RETURN scope:SCOPE_SYS
	s_wait_loadcnt 0x0
	global_inv scope:SCOPE_SYS
	v_cmpx_ne_u64_e64 v[0:1], v[7:8]
	s_cbranch_execz .LBB4_143
; %bb.140:
	s_mov_b32 s10, 0
.LBB4_141:                              ; =>This Inner Loop Header: Depth=1
	s_sleep 1
	s_clause 0x1
	global_load_b64 v[5:6], v4, s[6:7] offset:40
	global_load_b64 v[9:10], v4, s[6:7]
	v_dual_mov_b32 v8, v1 :: v_dual_mov_b32 v7, v0
	s_wait_loadcnt 0x1
	s_delay_alu instid0(VALU_DEP_1) | instskip(NEXT) | instid1(VALU_DEP_2)
	v_and_b32_e32 v0, v5, v7
	v_and_b32_e32 v5, v6, v8
	s_wait_loadcnt 0x0
	s_delay_alu instid0(VALU_DEP_2) | instskip(NEXT) | instid1(VALU_DEP_1)
	v_mad_co_u64_u32 v[0:1], null, v0, 24, v[9:10]
	v_mad_co_u64_u32 v[5:6], null, v5, 24, v[1:2]
	s_delay_alu instid0(VALU_DEP_1)
	v_mov_b32_e32 v1, v5
	global_load_b64 v[5:6], v[0:1], off scope:SCOPE_SYS
	s_wait_loadcnt 0x0
	global_atomic_cmpswap_b64 v[0:1], v4, v[5:8], s[6:7] offset:24 th:TH_ATOMIC_RETURN scope:SCOPE_SYS
	s_wait_loadcnt 0x0
	global_inv scope:SCOPE_SYS
	v_cmp_eq_u64_e32 vcc_lo, v[0:1], v[7:8]
	s_wait_alu 0xfffe
	s_or_b32 s10, vcc_lo, s10
	s_wait_alu 0xfffe
	s_and_not1_b32 exec_lo, exec_lo, s10
	s_cbranch_execnz .LBB4_141
; %bb.142:
	s_or_b32 exec_lo, exec_lo, s10
.LBB4_143:
	s_wait_alu 0xfffe
	s_or_b32 exec_lo, exec_lo, s9
.LBB4_144:
	s_wait_alu 0xfffe
	s_or_b32 exec_lo, exec_lo, s8
	v_readfirstlane_b32 s8, v0
	v_mov_b32_e32 v5, 0
	v_readfirstlane_b32 s9, v1
	s_mov_b32 s10, exec_lo
	s_clause 0x1
	global_load_b64 v[10:11], v5, s[6:7] offset:40
	global_load_b128 v[6:9], v5, s[6:7]
	s_wait_loadcnt 0x1
	s_wait_alu 0xf1ff
	v_and_b32_e32 v1, s9, v11
	v_and_b32_e32 v0, s8, v10
	s_delay_alu instid0(VALU_DEP_2) | instskip(NEXT) | instid1(VALU_DEP_2)
	v_mul_lo_u32 v4, 24, v1
	v_mul_lo_u32 v10, 0, v0
	v_mul_hi_u32 v11, 24, v0
	v_mul_lo_u32 v12, 24, v0
	s_delay_alu instid0(VALU_DEP_3) | instskip(SKIP_1) | instid1(VALU_DEP_2)
	v_add_nc_u32_e32 v4, v4, v10
	s_wait_loadcnt 0x0
	v_add_co_u32 v10, vcc_lo, v6, v12
	s_delay_alu instid0(VALU_DEP_2) | instskip(SKIP_1) | instid1(VALU_DEP_1)
	v_add_nc_u32_e32 v4, v4, v11
	s_wait_alu 0xfffd
	v_add_co_ci_u32_e64 v11, null, v7, v4, vcc_lo
	s_and_saveexec_b32 s11, s3
	s_cbranch_execz .LBB4_146
; %bb.145:
	s_wait_alu 0xfffe
	v_dual_mov_b32 v4, s10 :: v_dual_mov_b32 v15, 1
	v_dual_mov_b32 v14, 2 :: v_dual_mov_b32 v13, v5
	s_delay_alu instid0(VALU_DEP_2)
	v_mov_b32_e32 v12, v4
	global_store_b128 v[10:11], v[12:15], off offset:8
.LBB4_146:
	s_wait_alu 0xfffe
	s_or_b32 exec_lo, exec_lo, s11
	v_lshlrev_b64_e32 v[0:1], 12, v[0:1]
	s_mov_b32 s12, 0
	s_add_co_i32 s10, s20, -1
	s_wait_alu 0xfffe
	s_mov_b32 s13, s12
	s_mov_b32 s14, s12
	;; [unrolled: 1-line block ×3, first 2 shown]
	v_add_co_u32 v0, vcc_lo, v8, v0
	s_wait_alu 0xfffd
	v_add_co_ci_u32_e64 v1, null, v9, v1, vcc_lo
	v_and_or_b32 v2, 0xffffff1f, v2, 32
	s_delay_alu instid0(VALU_DEP_3)
	v_add_co_u32 v8, vcc_lo, v0, v32
	v_mov_b32_e32 v4, s10
	v_readfirstlane_b32 s16, v0
	v_readfirstlane_b32 s17, v1
	s_wait_alu 0xfffe
	v_dual_mov_b32 v12, s12 :: v_dual_mov_b32 v15, s15
	s_wait_alu 0xfffd
	v_add_co_ci_u32_e64 v9, null, 0, v1, vcc_lo
	v_dual_mov_b32 v13, s13 :: v_dual_mov_b32 v14, s14
	s_clause 0x3
	global_store_b128 v32, v[2:5], s[16:17]
	global_store_b128 v32, v[12:15], s[16:17] offset:16
	global_store_b128 v32, v[12:15], s[16:17] offset:32
	;; [unrolled: 1-line block ×3, first 2 shown]
	s_and_saveexec_b32 s11, s3
	s_cbranch_execz .LBB4_154
; %bb.147:
	v_mov_b32_e32 v12, 0
	s_mov_b32 s12, exec_lo
	s_clause 0x1
	global_load_b64 v[15:16], v12, s[6:7] offset:32 scope:SCOPE_SYS
	global_load_b64 v[0:1], v12, s[6:7] offset:40
	v_dual_mov_b32 v13, s8 :: v_dual_mov_b32 v14, s9
	s_wait_loadcnt 0x0
	v_and_b32_e32 v1, s9, v1
	v_and_b32_e32 v0, s8, v0
	s_delay_alu instid0(VALU_DEP_2) | instskip(NEXT) | instid1(VALU_DEP_2)
	v_mul_lo_u32 v1, 24, v1
	v_mul_lo_u32 v2, 0, v0
	v_mul_hi_u32 v3, 24, v0
	v_mul_lo_u32 v0, 24, v0
	s_delay_alu instid0(VALU_DEP_3) | instskip(NEXT) | instid1(VALU_DEP_2)
	v_add_nc_u32_e32 v1, v1, v2
	v_add_co_u32 v4, vcc_lo, v6, v0
	s_delay_alu instid0(VALU_DEP_2) | instskip(SKIP_1) | instid1(VALU_DEP_1)
	v_add_nc_u32_e32 v1, v1, v3
	s_wait_alu 0xfffd
	v_add_co_ci_u32_e64 v5, null, v7, v1, vcc_lo
	global_store_b64 v[4:5], v[15:16], off
	global_wb scope:SCOPE_SYS
	s_wait_storecnt 0x0
	global_atomic_cmpswap_b64 v[2:3], v12, v[13:16], s[6:7] offset:32 th:TH_ATOMIC_RETURN scope:SCOPE_SYS
	s_wait_loadcnt 0x0
	v_cmpx_ne_u64_e64 v[2:3], v[15:16]
	s_cbranch_execz .LBB4_150
; %bb.148:
	s_mov_b32 s13, 0
.LBB4_149:                              ; =>This Inner Loop Header: Depth=1
	v_dual_mov_b32 v0, s8 :: v_dual_mov_b32 v1, s9
	s_sleep 1
	global_store_b64 v[4:5], v[2:3], off
	global_wb scope:SCOPE_SYS
	s_wait_storecnt 0x0
	global_atomic_cmpswap_b64 v[0:1], v12, v[0:3], s[6:7] offset:32 th:TH_ATOMIC_RETURN scope:SCOPE_SYS
	s_wait_loadcnt 0x0
	v_cmp_eq_u64_e32 vcc_lo, v[0:1], v[2:3]
	v_dual_mov_b32 v3, v1 :: v_dual_mov_b32 v2, v0
	s_wait_alu 0xfffe
	s_or_b32 s13, vcc_lo, s13
	s_wait_alu 0xfffe
	s_and_not1_b32 exec_lo, exec_lo, s13
	s_cbranch_execnz .LBB4_149
.LBB4_150:
	s_wait_alu 0xfffe
	s_or_b32 exec_lo, exec_lo, s12
	v_mov_b32_e32 v3, 0
	s_mov_b32 s13, exec_lo
	s_mov_b32 s12, exec_lo
	s_wait_alu 0xfffe
	v_mbcnt_lo_u32_b32 v2, s13, 0
	global_load_b64 v[0:1], v3, s[6:7] offset:16
	v_cmpx_eq_u32_e32 0, v2
	s_cbranch_execz .LBB4_152
; %bb.151:
	s_bcnt1_i32_b32 s13, s13
	s_wait_alu 0xfffe
	v_mov_b32_e32 v2, s13
	global_wb scope:SCOPE_SYS
	s_wait_loadcnt 0x0
	s_wait_storecnt 0x0
	global_atomic_add_u64 v[0:1], v[2:3], off offset:8 scope:SCOPE_SYS
.LBB4_152:
	s_or_b32 exec_lo, exec_lo, s12
	s_wait_loadcnt 0x0
	global_load_b64 v[2:3], v[0:1], off offset:16
	s_wait_loadcnt 0x0
	v_cmp_eq_u64_e32 vcc_lo, 0, v[2:3]
	s_cbranch_vccnz .LBB4_154
; %bb.153:
	global_load_b32 v0, v[0:1], off offset:24
	v_mov_b32_e32 v1, 0
	s_wait_loadcnt 0x0
	v_readfirstlane_b32 s12, v0
	global_wb scope:SCOPE_SYS
	s_wait_storecnt 0x0
	global_store_b64 v[2:3], v[0:1], off scope:SCOPE_SYS
	s_and_b32 m0, s12, 0xffffff
	s_sendmsg sendmsg(MSG_INTERRUPT)
.LBB4_154:
	s_wait_alu 0xfffe
	s_or_b32 exec_lo, exec_lo, s11
	s_branch .LBB4_158
.LBB4_155:                              ;   in Loop: Header=BB4_158 Depth=1
	s_wait_alu 0xfffe
	s_or_b32 exec_lo, exec_lo, s11
	s_delay_alu instid0(VALU_DEP_1)
	v_readfirstlane_b32 s11, v0
	s_cmp_eq_u32 s11, 0
	s_cbranch_scc1 .LBB4_157
; %bb.156:                              ;   in Loop: Header=BB4_158 Depth=1
	s_sleep 1
	s_cbranch_execnz .LBB4_158
	s_branch .LBB4_160
.LBB4_157:
	s_branch .LBB4_160
.LBB4_158:                              ; =>This Inner Loop Header: Depth=1
	v_mov_b32_e32 v0, 1
	s_and_saveexec_b32 s11, s3
	s_cbranch_execz .LBB4_155
; %bb.159:                              ;   in Loop: Header=BB4_158 Depth=1
	global_load_b32 v0, v[10:11], off offset:20 scope:SCOPE_SYS
	s_wait_loadcnt 0x0
	global_inv scope:SCOPE_SYS
	v_and_b32_e32 v0, 1, v0
	s_branch .LBB4_155
.LBB4_160:
	global_load_b64 v[0:1], v[8:9], off
	s_and_saveexec_b32 s11, s3
	s_cbranch_execz .LBB4_164
; %bb.161:
	v_mov_b32_e32 v8, 0
	s_clause 0x2
	global_load_b64 v[2:3], v8, s[6:7] offset:40
	global_load_b64 v[11:12], v8, s[6:7] offset:24 scope:SCOPE_SYS
	global_load_b64 v[4:5], v8, s[6:7]
	s_wait_loadcnt 0x2
	v_readfirstlane_b32 s12, v2
	v_readfirstlane_b32 s13, v3
	s_add_nc_u64 s[14:15], s[12:13], 1
	s_wait_alu 0xfffe
	s_add_nc_u64 s[8:9], s[14:15], s[8:9]
	s_wait_alu 0xfffe
	s_cmp_eq_u64 s[8:9], 0
	s_cselect_b32 s9, s15, s9
	s_cselect_b32 s8, s14, s8
	s_wait_alu 0xfffe
	v_mov_b32_e32 v10, s9
	s_and_b64 s[12:13], s[8:9], s[12:13]
	v_mov_b32_e32 v9, s8
	s_wait_alu 0xfffe
	s_mul_u64 s[12:13], s[12:13], 24
	s_wait_loadcnt 0x0
	s_wait_alu 0xfffe
	v_add_co_u32 v6, vcc_lo, v4, s12
	s_wait_alu 0xfffd
	v_add_co_ci_u32_e64 v7, null, s13, v5, vcc_lo
	global_store_b64 v[6:7], v[11:12], off
	global_wb scope:SCOPE_SYS
	s_wait_storecnt 0x0
	global_atomic_cmpswap_b64 v[4:5], v8, v[9:12], s[6:7] offset:24 th:TH_ATOMIC_RETURN scope:SCOPE_SYS
	s_wait_loadcnt 0x0
	v_cmp_ne_u64_e32 vcc_lo, v[4:5], v[11:12]
	s_and_b32 exec_lo, exec_lo, vcc_lo
	s_cbranch_execz .LBB4_164
; %bb.162:
	s_mov_b32 s3, 0
.LBB4_163:                              ; =>This Inner Loop Header: Depth=1
	v_dual_mov_b32 v2, s8 :: v_dual_mov_b32 v3, s9
	s_sleep 1
	global_store_b64 v[6:7], v[4:5], off
	global_wb scope:SCOPE_SYS
	s_wait_storecnt 0x0
	global_atomic_cmpswap_b64 v[2:3], v8, v[2:5], s[6:7] offset:24 th:TH_ATOMIC_RETURN scope:SCOPE_SYS
	s_wait_loadcnt 0x0
	v_cmp_eq_u64_e32 vcc_lo, v[2:3], v[4:5]
	v_dual_mov_b32 v5, v3 :: v_dual_mov_b32 v4, v2
	s_wait_alu 0xfffe
	s_or_b32 s3, vcc_lo, s3
	s_wait_alu 0xfffe
	s_and_not1_b32 exec_lo, exec_lo, s3
	s_cbranch_execnz .LBB4_163
.LBB4_164:
	s_wait_alu 0xfffe
	s_or_b32 exec_lo, exec_lo, s11
	v_readfirstlane_b32 s3, v33
	v_mov_b32_e32 v8, 0
	v_mov_b32_e32 v9, 0
	s_wait_alu 0xf1ff
	s_delay_alu instid0(VALU_DEP_3)
	v_cmp_eq_u32_e64 s3, s3, v33
	s_and_saveexec_b32 s8, s3
	s_cbranch_execz .LBB4_170
; %bb.165:
	v_mov_b32_e32 v2, 0
	s_mov_b32 s9, exec_lo
	global_load_b64 v[5:6], v2, s[6:7] offset:24 scope:SCOPE_SYS
	s_wait_loadcnt 0x0
	global_inv scope:SCOPE_SYS
	s_clause 0x1
	global_load_b64 v[3:4], v2, s[6:7] offset:40
	global_load_b64 v[7:8], v2, s[6:7]
	s_wait_loadcnt 0x1
	v_and_b32_e32 v4, v4, v6
	v_and_b32_e32 v3, v3, v5
	s_delay_alu instid0(VALU_DEP_2) | instskip(NEXT) | instid1(VALU_DEP_2)
	v_mul_lo_u32 v4, 24, v4
	v_mul_lo_u32 v9, 0, v3
	v_mul_hi_u32 v10, 24, v3
	v_mul_lo_u32 v3, 24, v3
	s_delay_alu instid0(VALU_DEP_3) | instskip(SKIP_1) | instid1(VALU_DEP_2)
	v_add_nc_u32_e32 v4, v4, v9
	s_wait_loadcnt 0x0
	v_add_co_u32 v3, vcc_lo, v7, v3
	s_delay_alu instid0(VALU_DEP_2) | instskip(SKIP_1) | instid1(VALU_DEP_1)
	v_add_nc_u32_e32 v4, v4, v10
	s_wait_alu 0xfffd
	v_add_co_ci_u32_e64 v4, null, v8, v4, vcc_lo
	global_load_b64 v[3:4], v[3:4], off scope:SCOPE_SYS
	s_wait_loadcnt 0x0
	global_atomic_cmpswap_b64 v[8:9], v2, v[3:6], s[6:7] offset:24 th:TH_ATOMIC_RETURN scope:SCOPE_SYS
	s_wait_loadcnt 0x0
	global_inv scope:SCOPE_SYS
	v_cmpx_ne_u64_e64 v[8:9], v[5:6]
	s_cbranch_execz .LBB4_169
; %bb.166:
	s_mov_b32 s11, 0
.LBB4_167:                              ; =>This Inner Loop Header: Depth=1
	s_sleep 1
	s_clause 0x1
	global_load_b64 v[3:4], v2, s[6:7] offset:40
	global_load_b64 v[10:11], v2, s[6:7]
	v_dual_mov_b32 v5, v8 :: v_dual_mov_b32 v6, v9
	s_wait_loadcnt 0x1
	s_delay_alu instid0(VALU_DEP_1) | instskip(NEXT) | instid1(VALU_DEP_2)
	v_and_b32_e32 v3, v3, v5
	v_and_b32_e32 v4, v4, v6
	s_wait_loadcnt 0x0
	s_delay_alu instid0(VALU_DEP_2) | instskip(NEXT) | instid1(VALU_DEP_1)
	v_mad_co_u64_u32 v[7:8], null, v3, 24, v[10:11]
	v_mov_b32_e32 v3, v8
	s_delay_alu instid0(VALU_DEP_1) | instskip(NEXT) | instid1(VALU_DEP_1)
	v_mad_co_u64_u32 v[3:4], null, v4, 24, v[3:4]
	v_mov_b32_e32 v8, v3
	global_load_b64 v[3:4], v[7:8], off scope:SCOPE_SYS
	s_wait_loadcnt 0x0
	global_atomic_cmpswap_b64 v[8:9], v2, v[3:6], s[6:7] offset:24 th:TH_ATOMIC_RETURN scope:SCOPE_SYS
	s_wait_loadcnt 0x0
	global_inv scope:SCOPE_SYS
	v_cmp_eq_u64_e32 vcc_lo, v[8:9], v[5:6]
	s_wait_alu 0xfffe
	s_or_b32 s11, vcc_lo, s11
	s_wait_alu 0xfffe
	s_and_not1_b32 exec_lo, exec_lo, s11
	s_cbranch_execnz .LBB4_167
; %bb.168:
	s_or_b32 exec_lo, exec_lo, s11
.LBB4_169:
	s_wait_alu 0xfffe
	s_or_b32 exec_lo, exec_lo, s9
.LBB4_170:
	s_wait_alu 0xfffe
	s_or_b32 exec_lo, exec_lo, s8
	v_readfirstlane_b32 s8, v8
	v_mov_b32_e32 v3, 0
	v_readfirstlane_b32 s9, v9
	s_mov_b32 s11, exec_lo
	s_clause 0x1
	global_load_b64 v[10:11], v3, s[6:7] offset:40
	global_load_b128 v[4:7], v3, s[6:7]
	s_wait_loadcnt 0x1
	s_wait_alu 0xf1ff
	v_and_b32_e32 v11, s9, v11
	v_and_b32_e32 v10, s8, v10
	s_delay_alu instid0(VALU_DEP_2) | instskip(NEXT) | instid1(VALU_DEP_2)
	v_mul_lo_u32 v2, 24, v11
	v_mul_lo_u32 v8, 0, v10
	v_mul_hi_u32 v9, 24, v10
	v_mul_lo_u32 v12, 24, v10
	s_delay_alu instid0(VALU_DEP_3) | instskip(SKIP_1) | instid1(VALU_DEP_2)
	v_add_nc_u32_e32 v2, v2, v8
	s_wait_loadcnt 0x0
	v_add_co_u32 v8, vcc_lo, v4, v12
	s_delay_alu instid0(VALU_DEP_2) | instskip(SKIP_1) | instid1(VALU_DEP_1)
	v_add_nc_u32_e32 v2, v2, v9
	s_wait_alu 0xfffd
	v_add_co_ci_u32_e64 v9, null, v5, v2, vcc_lo
	s_and_saveexec_b32 s12, s3
	s_cbranch_execz .LBB4_172
; %bb.171:
	s_wait_alu 0xfffe
	v_dual_mov_b32 v2, s11 :: v_dual_mov_b32 v15, 1
	v_dual_mov_b32 v14, 2 :: v_dual_mov_b32 v13, v3
	s_delay_alu instid0(VALU_DEP_2)
	v_mov_b32_e32 v12, v2
	global_store_b128 v[8:9], v[12:15], off offset:8
.LBB4_172:
	s_wait_alu 0xfffe
	s_or_b32 exec_lo, exec_lo, s12
	v_lshlrev_b64_e32 v[10:11], 12, v[10:11]
	s_mov_b32 s12, 0
	v_cndmask_b32_e64 v2, -1, v34, s2
	s_wait_alu 0xfffe
	s_mov_b32 s13, s12
	s_mov_b32 s14, s12
	;; [unrolled: 1-line block ×3, first 2 shown]
	v_add_co_u32 v6, vcc_lo, v6, v10
	s_wait_alu 0xfffd
	v_add_co_ci_u32_e64 v7, null, v7, v11, vcc_lo
	v_and_or_b32 v0, 0xffffff1f, v0, 32
	s_delay_alu instid0(VALU_DEP_3) | instskip(SKIP_1) | instid1(VALU_DEP_4)
	v_readfirstlane_b32 s16, v6
	v_add_co_u32 v6, vcc_lo, v6, v32
	v_readfirstlane_b32 s17, v7
	s_wait_alu 0xfffe
	v_dual_mov_b32 v10, s12 :: v_dual_mov_b32 v11, s13
	s_wait_alu 0xfffd
	v_add_co_ci_u32_e64 v7, null, 0, v7, vcc_lo
	v_dual_mov_b32 v12, s14 :: v_dual_mov_b32 v13, s15
	s_clause 0x3
	global_store_b128 v32, v[0:3], s[16:17]
	global_store_b128 v32, v[10:13], s[16:17] offset:16
	global_store_b128 v32, v[10:13], s[16:17] offset:32
	;; [unrolled: 1-line block ×3, first 2 shown]
	s_and_saveexec_b32 s2, s3
	s_cbranch_execz .LBB4_179
; %bb.173:
	v_mov_b32_e32 v10, 0
	s_mov_b32 s11, exec_lo
	s_clause 0x1
	global_load_b64 v[13:14], v10, s[6:7] offset:32 scope:SCOPE_SYS
	global_load_b64 v[0:1], v10, s[6:7] offset:40
	v_dual_mov_b32 v11, s8 :: v_dual_mov_b32 v12, s9
	s_wait_loadcnt 0x0
	v_and_b32_e32 v1, s9, v1
	v_and_b32_e32 v0, s8, v0
	s_delay_alu instid0(VALU_DEP_2) | instskip(NEXT) | instid1(VALU_DEP_2)
	v_mul_lo_u32 v1, 24, v1
	v_mul_lo_u32 v2, 0, v0
	v_mul_hi_u32 v3, 24, v0
	v_mul_lo_u32 v0, 24, v0
	s_delay_alu instid0(VALU_DEP_3) | instskip(NEXT) | instid1(VALU_DEP_2)
	v_add_nc_u32_e32 v1, v1, v2
	v_add_co_u32 v4, vcc_lo, v4, v0
	s_delay_alu instid0(VALU_DEP_2) | instskip(SKIP_1) | instid1(VALU_DEP_1)
	v_add_nc_u32_e32 v1, v1, v3
	s_wait_alu 0xfffd
	v_add_co_ci_u32_e64 v5, null, v5, v1, vcc_lo
	global_store_b64 v[4:5], v[13:14], off
	global_wb scope:SCOPE_SYS
	s_wait_storecnt 0x0
	global_atomic_cmpswap_b64 v[2:3], v10, v[11:14], s[6:7] offset:32 th:TH_ATOMIC_RETURN scope:SCOPE_SYS
	s_wait_loadcnt 0x0
	v_cmpx_ne_u64_e64 v[2:3], v[13:14]
	s_cbranch_execz .LBB4_175
.LBB4_174:                              ; =>This Inner Loop Header: Depth=1
	v_dual_mov_b32 v0, s8 :: v_dual_mov_b32 v1, s9
	s_sleep 1
	global_store_b64 v[4:5], v[2:3], off
	global_wb scope:SCOPE_SYS
	s_wait_storecnt 0x0
	global_atomic_cmpswap_b64 v[0:1], v10, v[0:3], s[6:7] offset:32 th:TH_ATOMIC_RETURN scope:SCOPE_SYS
	s_wait_loadcnt 0x0
	v_cmp_eq_u64_e32 vcc_lo, v[0:1], v[2:3]
	v_dual_mov_b32 v3, v1 :: v_dual_mov_b32 v2, v0
	s_or_b32 s12, vcc_lo, s12
	s_wait_alu 0xfffe
	s_and_not1_b32 exec_lo, exec_lo, s12
	s_cbranch_execnz .LBB4_174
.LBB4_175:
	s_wait_alu 0xfffe
	s_or_b32 exec_lo, exec_lo, s11
	v_mov_b32_e32 v3, 0
	s_mov_b32 s12, exec_lo
	s_mov_b32 s11, exec_lo
	s_wait_alu 0xfffe
	v_mbcnt_lo_u32_b32 v2, s12, 0
	global_load_b64 v[0:1], v3, s[6:7] offset:16
	v_cmpx_eq_u32_e32 0, v2
	s_cbranch_execz .LBB4_177
; %bb.176:
	s_bcnt1_i32_b32 s12, s12
	s_wait_alu 0xfffe
	v_mov_b32_e32 v2, s12
	global_wb scope:SCOPE_SYS
	s_wait_loadcnt 0x0
	s_wait_storecnt 0x0
	global_atomic_add_u64 v[0:1], v[2:3], off offset:8 scope:SCOPE_SYS
.LBB4_177:
	s_or_b32 exec_lo, exec_lo, s11
	s_wait_loadcnt 0x0
	global_load_b64 v[2:3], v[0:1], off offset:16
	s_wait_loadcnt 0x0
	v_cmp_eq_u64_e32 vcc_lo, 0, v[2:3]
	s_cbranch_vccnz .LBB4_179
; %bb.178:
	global_load_b32 v0, v[0:1], off offset:24
	v_mov_b32_e32 v1, 0
	s_wait_loadcnt 0x0
	v_readfirstlane_b32 s11, v0
	global_wb scope:SCOPE_SYS
	s_wait_storecnt 0x0
	global_store_b64 v[2:3], v[0:1], off scope:SCOPE_SYS
	s_and_b32 m0, s11, 0xffffff
	s_sendmsg sendmsg(MSG_INTERRUPT)
.LBB4_179:
	s_wait_alu 0xfffe
	s_or_b32 exec_lo, exec_lo, s2
	s_branch .LBB4_183
.LBB4_180:                              ;   in Loop: Header=BB4_183 Depth=1
	s_wait_alu 0xfffe
	s_or_b32 exec_lo, exec_lo, s2
	s_delay_alu instid0(VALU_DEP_1)
	v_readfirstlane_b32 s2, v0
	s_cmp_eq_u32 s2, 0
	s_cbranch_scc1 .LBB4_182
; %bb.181:                              ;   in Loop: Header=BB4_183 Depth=1
	s_sleep 1
	s_cbranch_execnz .LBB4_183
	s_branch .LBB4_185
.LBB4_182:
	s_branch .LBB4_185
.LBB4_183:                              ; =>This Inner Loop Header: Depth=1
	v_mov_b32_e32 v0, 1
	s_and_saveexec_b32 s2, s3
	s_cbranch_execz .LBB4_180
; %bb.184:                              ;   in Loop: Header=BB4_183 Depth=1
	global_load_b32 v0, v[8:9], off offset:20 scope:SCOPE_SYS
	s_wait_loadcnt 0x0
	global_inv scope:SCOPE_SYS
	v_and_b32_e32 v0, 1, v0
	s_branch .LBB4_180
.LBB4_185:
	global_load_b64 v[0:1], v[6:7], off
	s_and_saveexec_b32 s11, s3
	s_cbranch_execz .LBB4_189
; %bb.186:
	v_mov_b32_e32 v8, 0
	s_clause 0x2
	global_load_b64 v[2:3], v8, s[6:7] offset:40
	global_load_b64 v[11:12], v8, s[6:7] offset:24 scope:SCOPE_SYS
	global_load_b64 v[4:5], v8, s[6:7]
	s_wait_loadcnt 0x2
	v_readfirstlane_b32 s12, v2
	v_readfirstlane_b32 s13, v3
	s_add_nc_u64 s[2:3], s[12:13], 1
	s_wait_alu 0xfffe
	s_add_nc_u64 s[8:9], s[2:3], s[8:9]
	s_wait_alu 0xfffe
	s_cmp_eq_u64 s[8:9], 0
	s_cselect_b32 s3, s3, s9
	s_cselect_b32 s2, s2, s8
	s_wait_alu 0xfffe
	v_mov_b32_e32 v10, s3
	s_and_b64 s[8:9], s[2:3], s[12:13]
	v_mov_b32_e32 v9, s2
	s_wait_alu 0xfffe
	s_mul_u64 s[8:9], s[8:9], 24
	s_wait_loadcnt 0x0
	s_wait_alu 0xfffe
	v_add_co_u32 v6, vcc_lo, v4, s8
	s_wait_alu 0xfffd
	v_add_co_ci_u32_e64 v7, null, s9, v5, vcc_lo
	global_store_b64 v[6:7], v[11:12], off
	global_wb scope:SCOPE_SYS
	s_wait_storecnt 0x0
	global_atomic_cmpswap_b64 v[4:5], v8, v[9:12], s[6:7] offset:24 th:TH_ATOMIC_RETURN scope:SCOPE_SYS
	s_wait_loadcnt 0x0
	v_cmp_ne_u64_e32 vcc_lo, v[4:5], v[11:12]
	s_and_b32 exec_lo, exec_lo, vcc_lo
	s_cbranch_execz .LBB4_189
; %bb.187:
	s_mov_b32 s8, 0
.LBB4_188:                              ; =>This Inner Loop Header: Depth=1
	v_dual_mov_b32 v2, s2 :: v_dual_mov_b32 v3, s3
	s_sleep 1
	global_store_b64 v[6:7], v[4:5], off
	global_wb scope:SCOPE_SYS
	s_wait_storecnt 0x0
	global_atomic_cmpswap_b64 v[2:3], v8, v[2:5], s[6:7] offset:24 th:TH_ATOMIC_RETURN scope:SCOPE_SYS
	s_wait_loadcnt 0x0
	v_cmp_eq_u64_e32 vcc_lo, v[2:3], v[4:5]
	v_dual_mov_b32 v5, v3 :: v_dual_mov_b32 v4, v2
	s_wait_alu 0xfffe
	s_or_b32 s8, vcc_lo, s8
	s_wait_alu 0xfffe
	s_and_not1_b32 exec_lo, exec_lo, s8
	s_cbranch_execnz .LBB4_188
.LBB4_189:
	s_wait_alu 0xfffe
	s_or_b32 exec_lo, exec_lo, s11
	v_readfirstlane_b32 s2, v33
	v_mov_b32_e32 v8, 0
	v_mov_b32_e32 v9, 0
	s_wait_alu 0xf1ff
	s_delay_alu instid0(VALU_DEP_3)
	v_cmp_eq_u32_e64 s2, s2, v33
	s_and_saveexec_b32 s3, s2
	s_cbranch_execz .LBB4_195
; %bb.190:
	v_mov_b32_e32 v2, 0
	s_mov_b32 s8, exec_lo
	global_load_b64 v[5:6], v2, s[6:7] offset:24 scope:SCOPE_SYS
	s_wait_loadcnt 0x0
	global_inv scope:SCOPE_SYS
	s_clause 0x1
	global_load_b64 v[3:4], v2, s[6:7] offset:40
	global_load_b64 v[7:8], v2, s[6:7]
	s_wait_loadcnt 0x1
	v_and_b32_e32 v4, v4, v6
	v_and_b32_e32 v3, v3, v5
	s_delay_alu instid0(VALU_DEP_2) | instskip(NEXT) | instid1(VALU_DEP_2)
	v_mul_lo_u32 v4, 24, v4
	v_mul_lo_u32 v9, 0, v3
	v_mul_hi_u32 v10, 24, v3
	v_mul_lo_u32 v3, 24, v3
	s_delay_alu instid0(VALU_DEP_3) | instskip(SKIP_1) | instid1(VALU_DEP_2)
	v_add_nc_u32_e32 v4, v4, v9
	s_wait_loadcnt 0x0
	v_add_co_u32 v3, vcc_lo, v7, v3
	s_delay_alu instid0(VALU_DEP_2) | instskip(SKIP_1) | instid1(VALU_DEP_1)
	v_add_nc_u32_e32 v4, v4, v10
	s_wait_alu 0xfffd
	v_add_co_ci_u32_e64 v4, null, v8, v4, vcc_lo
	global_load_b64 v[3:4], v[3:4], off scope:SCOPE_SYS
	s_wait_loadcnt 0x0
	global_atomic_cmpswap_b64 v[8:9], v2, v[3:6], s[6:7] offset:24 th:TH_ATOMIC_RETURN scope:SCOPE_SYS
	s_wait_loadcnt 0x0
	global_inv scope:SCOPE_SYS
	v_cmpx_ne_u64_e64 v[8:9], v[5:6]
	s_cbranch_execz .LBB4_194
; %bb.191:
	s_mov_b32 s9, 0
.LBB4_192:                              ; =>This Inner Loop Header: Depth=1
	s_sleep 1
	s_clause 0x1
	global_load_b64 v[3:4], v2, s[6:7] offset:40
	global_load_b64 v[10:11], v2, s[6:7]
	v_dual_mov_b32 v5, v8 :: v_dual_mov_b32 v6, v9
	s_wait_loadcnt 0x1
	s_delay_alu instid0(VALU_DEP_1) | instskip(NEXT) | instid1(VALU_DEP_2)
	v_and_b32_e32 v3, v3, v5
	v_and_b32_e32 v4, v4, v6
	s_wait_loadcnt 0x0
	s_delay_alu instid0(VALU_DEP_2) | instskip(NEXT) | instid1(VALU_DEP_1)
	v_mad_co_u64_u32 v[7:8], null, v3, 24, v[10:11]
	v_mov_b32_e32 v3, v8
	s_delay_alu instid0(VALU_DEP_1) | instskip(NEXT) | instid1(VALU_DEP_1)
	v_mad_co_u64_u32 v[3:4], null, v4, 24, v[3:4]
	v_mov_b32_e32 v8, v3
	global_load_b64 v[3:4], v[7:8], off scope:SCOPE_SYS
	s_wait_loadcnt 0x0
	global_atomic_cmpswap_b64 v[8:9], v2, v[3:6], s[6:7] offset:24 th:TH_ATOMIC_RETURN scope:SCOPE_SYS
	s_wait_loadcnt 0x0
	global_inv scope:SCOPE_SYS
	v_cmp_eq_u64_e32 vcc_lo, v[8:9], v[5:6]
	s_wait_alu 0xfffe
	s_or_b32 s9, vcc_lo, s9
	s_wait_alu 0xfffe
	s_and_not1_b32 exec_lo, exec_lo, s9
	s_cbranch_execnz .LBB4_192
; %bb.193:
	s_or_b32 exec_lo, exec_lo, s9
.LBB4_194:
	s_wait_alu 0xfffe
	s_or_b32 exec_lo, exec_lo, s8
.LBB4_195:
	s_wait_alu 0xfffe
	s_or_b32 exec_lo, exec_lo, s3
	v_readfirstlane_b32 s8, v8
	v_mov_b32_e32 v3, 0
	v_readfirstlane_b32 s9, v9
	s_mov_b32 s3, exec_lo
	s_clause 0x1
	global_load_b64 v[10:11], v3, s[6:7] offset:40
	global_load_b128 v[4:7], v3, s[6:7]
	s_wait_loadcnt 0x1
	s_wait_alu 0xf1ff
	v_and_b32_e32 v11, s9, v11
	v_and_b32_e32 v10, s8, v10
	s_delay_alu instid0(VALU_DEP_2) | instskip(NEXT) | instid1(VALU_DEP_2)
	v_mul_lo_u32 v2, 24, v11
	v_mul_lo_u32 v8, 0, v10
	v_mul_hi_u32 v9, 24, v10
	v_mul_lo_u32 v12, 24, v10
	s_delay_alu instid0(VALU_DEP_3) | instskip(SKIP_1) | instid1(VALU_DEP_2)
	v_add_nc_u32_e32 v2, v2, v8
	s_wait_loadcnt 0x0
	v_add_co_u32 v8, vcc_lo, v4, v12
	s_delay_alu instid0(VALU_DEP_2) | instskip(SKIP_1) | instid1(VALU_DEP_1)
	v_add_nc_u32_e32 v2, v2, v9
	s_wait_alu 0xfffd
	v_add_co_ci_u32_e64 v9, null, v5, v2, vcc_lo
	s_and_saveexec_b32 s11, s2
	s_cbranch_execz .LBB4_197
; %bb.196:
	s_wait_alu 0xfffe
	v_dual_mov_b32 v2, s3 :: v_dual_mov_b32 v15, 1
	v_dual_mov_b32 v14, 2 :: v_dual_mov_b32 v13, v3
	s_delay_alu instid0(VALU_DEP_2)
	v_mov_b32_e32 v12, v2
	global_store_b128 v[8:9], v[12:15], off offset:8
.LBB4_197:
	s_wait_alu 0xfffe
	s_or_b32 exec_lo, exec_lo, s11
	v_lshlrev_b64_e32 v[10:11], 12, v[10:11]
	s_mul_i32 s10, s10, s20
	s_mov_b32 s12, 0
	s_wait_alu 0xfffe
	s_lshr_b32 s3, s10, 1
	s_mov_b32 s13, s12
	s_mov_b32 s14, s12
	v_add_co_u32 v6, vcc_lo, v6, v10
	s_wait_alu 0xfffd
	v_add_co_ci_u32_e64 v7, null, v7, v11, vcc_lo
	s_mov_b32 s15, s12
	v_and_or_b32 v0, 0xffffff1d, v0, 34
	s_wait_alu 0xfffe
	v_mov_b32_e32 v2, s3
	v_readfirstlane_b32 s10, v6
	v_readfirstlane_b32 s11, v7
	v_dual_mov_b32 v10, s12 :: v_dual_mov_b32 v13, s15
	v_dual_mov_b32 v11, s13 :: v_dual_mov_b32 v12, s14
	s_clause 0x3
	global_store_b128 v32, v[0:3], s[10:11]
	global_store_b128 v32, v[10:13], s[10:11] offset:16
	global_store_b128 v32, v[10:13], s[10:11] offset:32
	;; [unrolled: 1-line block ×3, first 2 shown]
	s_and_saveexec_b32 s3, s2
	s_cbranch_execz .LBB4_205
; %bb.198:
	v_mov_b32_e32 v6, 0
	s_mov_b32 s10, exec_lo
	s_clause 0x1
	global_load_b64 v[12:13], v6, s[6:7] offset:32 scope:SCOPE_SYS
	global_load_b64 v[0:1], v6, s[6:7] offset:40
	v_dual_mov_b32 v11, s9 :: v_dual_mov_b32 v10, s8
	s_wait_loadcnt 0x0
	v_and_b32_e32 v1, s9, v1
	v_and_b32_e32 v0, s8, v0
	s_delay_alu instid0(VALU_DEP_2) | instskip(NEXT) | instid1(VALU_DEP_2)
	v_mul_lo_u32 v1, 24, v1
	v_mul_lo_u32 v2, 0, v0
	v_mul_hi_u32 v3, 24, v0
	v_mul_lo_u32 v0, 24, v0
	s_delay_alu instid0(VALU_DEP_3) | instskip(NEXT) | instid1(VALU_DEP_2)
	v_add_nc_u32_e32 v1, v1, v2
	v_add_co_u32 v4, vcc_lo, v4, v0
	s_delay_alu instid0(VALU_DEP_2) | instskip(SKIP_1) | instid1(VALU_DEP_1)
	v_add_nc_u32_e32 v1, v1, v3
	s_wait_alu 0xfffd
	v_add_co_ci_u32_e64 v5, null, v5, v1, vcc_lo
	global_store_b64 v[4:5], v[12:13], off
	global_wb scope:SCOPE_SYS
	s_wait_storecnt 0x0
	global_atomic_cmpswap_b64 v[2:3], v6, v[10:13], s[6:7] offset:32 th:TH_ATOMIC_RETURN scope:SCOPE_SYS
	s_wait_loadcnt 0x0
	v_cmpx_ne_u64_e64 v[2:3], v[12:13]
	s_cbranch_execz .LBB4_201
; %bb.199:
	s_mov_b32 s11, 0
.LBB4_200:                              ; =>This Inner Loop Header: Depth=1
	v_dual_mov_b32 v0, s8 :: v_dual_mov_b32 v1, s9
	s_sleep 1
	global_store_b64 v[4:5], v[2:3], off
	global_wb scope:SCOPE_SYS
	s_wait_storecnt 0x0
	global_atomic_cmpswap_b64 v[0:1], v6, v[0:3], s[6:7] offset:32 th:TH_ATOMIC_RETURN scope:SCOPE_SYS
	s_wait_loadcnt 0x0
	v_cmp_eq_u64_e32 vcc_lo, v[0:1], v[2:3]
	v_dual_mov_b32 v3, v1 :: v_dual_mov_b32 v2, v0
	s_wait_alu 0xfffe
	s_or_b32 s11, vcc_lo, s11
	s_wait_alu 0xfffe
	s_and_not1_b32 exec_lo, exec_lo, s11
	s_cbranch_execnz .LBB4_200
.LBB4_201:
	s_wait_alu 0xfffe
	s_or_b32 exec_lo, exec_lo, s10
	v_mov_b32_e32 v3, 0
	s_mov_b32 s11, exec_lo
	s_mov_b32 s10, exec_lo
	s_wait_alu 0xfffe
	v_mbcnt_lo_u32_b32 v2, s11, 0
	global_load_b64 v[0:1], v3, s[6:7] offset:16
	v_cmpx_eq_u32_e32 0, v2
	s_cbranch_execz .LBB4_203
; %bb.202:
	s_bcnt1_i32_b32 s11, s11
	s_wait_alu 0xfffe
	v_mov_b32_e32 v2, s11
	global_wb scope:SCOPE_SYS
	s_wait_loadcnt 0x0
	s_wait_storecnt 0x0
	global_atomic_add_u64 v[0:1], v[2:3], off offset:8 scope:SCOPE_SYS
.LBB4_203:
	s_or_b32 exec_lo, exec_lo, s10
	s_wait_loadcnt 0x0
	global_load_b64 v[2:3], v[0:1], off offset:16
	s_wait_loadcnt 0x0
	v_cmp_eq_u64_e32 vcc_lo, 0, v[2:3]
	s_cbranch_vccnz .LBB4_205
; %bb.204:
	global_load_b32 v0, v[0:1], off offset:24
	v_mov_b32_e32 v1, 0
	s_wait_loadcnt 0x0
	v_readfirstlane_b32 s10, v0
	global_wb scope:SCOPE_SYS
	s_wait_storecnt 0x0
	global_store_b64 v[2:3], v[0:1], off scope:SCOPE_SYS
	s_and_b32 m0, s10, 0xffffff
	s_sendmsg sendmsg(MSG_INTERRUPT)
.LBB4_205:
	s_wait_alu 0xfffe
	s_or_b32 exec_lo, exec_lo, s3
	s_branch .LBB4_209
.LBB4_206:                              ;   in Loop: Header=BB4_209 Depth=1
	s_wait_alu 0xfffe
	s_or_b32 exec_lo, exec_lo, s3
	s_delay_alu instid0(VALU_DEP_1)
	v_readfirstlane_b32 s3, v0
	s_cmp_eq_u32 s3, 0
	s_cbranch_scc1 .LBB4_208
; %bb.207:                              ;   in Loop: Header=BB4_209 Depth=1
	s_sleep 1
	s_cbranch_execnz .LBB4_209
	s_branch .LBB4_211
.LBB4_208:
	s_branch .LBB4_211
.LBB4_209:                              ; =>This Inner Loop Header: Depth=1
	v_mov_b32_e32 v0, 1
	s_and_saveexec_b32 s3, s2
	s_cbranch_execz .LBB4_206
; %bb.210:                              ;   in Loop: Header=BB4_209 Depth=1
	global_load_b32 v0, v[8:9], off offset:20 scope:SCOPE_SYS
	s_wait_loadcnt 0x0
	global_inv scope:SCOPE_SYS
	v_and_b32_e32 v0, 1, v0
	s_branch .LBB4_206
.LBB4_211:
	s_and_saveexec_b32 s10, s2
	s_cbranch_execz .LBB4_215
; %bb.212:
	v_mov_b32_e32 v6, 0
	s_clause 0x2
	global_load_b64 v[0:1], v6, s[6:7] offset:40
	global_load_b64 v[9:10], v6, s[6:7] offset:24 scope:SCOPE_SYS
	global_load_b64 v[2:3], v6, s[6:7]
	s_wait_loadcnt 0x2
	v_readfirstlane_b32 s12, v0
	v_readfirstlane_b32 s13, v1
	s_add_nc_u64 s[2:3], s[12:13], 1
	s_wait_alu 0xfffe
	s_add_nc_u64 s[8:9], s[2:3], s[8:9]
	s_wait_alu 0xfffe
	s_cmp_eq_u64 s[8:9], 0
	s_cselect_b32 s3, s3, s9
	s_cselect_b32 s2, s2, s8
	s_wait_alu 0xfffe
	v_mov_b32_e32 v8, s3
	s_and_b64 s[8:9], s[2:3], s[12:13]
	v_mov_b32_e32 v7, s2
	s_wait_alu 0xfffe
	s_mul_u64 s[8:9], s[8:9], 24
	s_wait_loadcnt 0x0
	s_wait_alu 0xfffe
	v_add_co_u32 v4, vcc_lo, v2, s8
	s_wait_alu 0xfffd
	v_add_co_ci_u32_e64 v5, null, s9, v3, vcc_lo
	global_store_b64 v[4:5], v[9:10], off
	global_wb scope:SCOPE_SYS
	s_wait_storecnt 0x0
	global_atomic_cmpswap_b64 v[2:3], v6, v[7:10], s[6:7] offset:24 th:TH_ATOMIC_RETURN scope:SCOPE_SYS
	s_wait_loadcnt 0x0
	v_cmp_ne_u64_e32 vcc_lo, v[2:3], v[9:10]
	s_and_b32 exec_lo, exec_lo, vcc_lo
	s_cbranch_execz .LBB4_215
; %bb.213:
	s_mov_b32 s8, 0
.LBB4_214:                              ; =>This Inner Loop Header: Depth=1
	v_dual_mov_b32 v0, s2 :: v_dual_mov_b32 v1, s3
	s_sleep 1
	global_store_b64 v[4:5], v[2:3], off
	global_wb scope:SCOPE_SYS
	s_wait_storecnt 0x0
	global_atomic_cmpswap_b64 v[0:1], v6, v[0:3], s[6:7] offset:24 th:TH_ATOMIC_RETURN scope:SCOPE_SYS
	s_wait_loadcnt 0x0
	v_cmp_eq_u64_e32 vcc_lo, v[0:1], v[2:3]
	v_dual_mov_b32 v3, v1 :: v_dual_mov_b32 v2, v0
	s_wait_alu 0xfffe
	s_or_b32 s8, vcc_lo, s8
	s_wait_alu 0xfffe
	s_and_not1_b32 exec_lo, exec_lo, s8
	s_cbranch_execnz .LBB4_214
.LBB4_215:
	s_wait_alu 0xfffe
	s_or_b32 exec_lo, exec_lo, s10
	v_readfirstlane_b32 s2, v33
	v_mov_b32_e32 v6, 0
	v_mov_b32_e32 v7, 0
	s_wait_alu 0xf1ff
	s_delay_alu instid0(VALU_DEP_3)
	v_cmp_eq_u32_e64 s2, s2, v33
	s_and_saveexec_b32 s3, s2
	s_cbranch_execz .LBB4_221
; %bb.216:
	v_mov_b32_e32 v0, 0
	s_mov_b32 s8, exec_lo
	global_load_b64 v[3:4], v0, s[6:7] offset:24 scope:SCOPE_SYS
	s_wait_loadcnt 0x0
	global_inv scope:SCOPE_SYS
	s_clause 0x1
	global_load_b64 v[1:2], v0, s[6:7] offset:40
	global_load_b64 v[5:6], v0, s[6:7]
	s_wait_loadcnt 0x1
	v_and_b32_e32 v2, v2, v4
	v_and_b32_e32 v1, v1, v3
	s_delay_alu instid0(VALU_DEP_2) | instskip(NEXT) | instid1(VALU_DEP_2)
	v_mul_lo_u32 v2, 24, v2
	v_mul_lo_u32 v7, 0, v1
	v_mul_hi_u32 v8, 24, v1
	v_mul_lo_u32 v1, 24, v1
	s_delay_alu instid0(VALU_DEP_3) | instskip(SKIP_1) | instid1(VALU_DEP_2)
	v_add_nc_u32_e32 v2, v2, v7
	s_wait_loadcnt 0x0
	v_add_co_u32 v1, vcc_lo, v5, v1
	s_delay_alu instid0(VALU_DEP_2) | instskip(SKIP_1) | instid1(VALU_DEP_1)
	v_add_nc_u32_e32 v2, v2, v8
	s_wait_alu 0xfffd
	v_add_co_ci_u32_e64 v2, null, v6, v2, vcc_lo
	global_load_b64 v[1:2], v[1:2], off scope:SCOPE_SYS
	s_wait_loadcnt 0x0
	global_atomic_cmpswap_b64 v[6:7], v0, v[1:4], s[6:7] offset:24 th:TH_ATOMIC_RETURN scope:SCOPE_SYS
	s_wait_loadcnt 0x0
	global_inv scope:SCOPE_SYS
	v_cmpx_ne_u64_e64 v[6:7], v[3:4]
	s_cbranch_execz .LBB4_220
; %bb.217:
	s_mov_b32 s9, 0
.LBB4_218:                              ; =>This Inner Loop Header: Depth=1
	s_sleep 1
	s_clause 0x1
	global_load_b64 v[1:2], v0, s[6:7] offset:40
	global_load_b64 v[8:9], v0, s[6:7]
	v_dual_mov_b32 v3, v6 :: v_dual_mov_b32 v4, v7
	s_wait_loadcnt 0x1
	s_delay_alu instid0(VALU_DEP_1) | instskip(NEXT) | instid1(VALU_DEP_2)
	v_and_b32_e32 v1, v1, v3
	v_and_b32_e32 v2, v2, v4
	s_wait_loadcnt 0x0
	s_delay_alu instid0(VALU_DEP_2) | instskip(NEXT) | instid1(VALU_DEP_1)
	v_mad_co_u64_u32 v[5:6], null, v1, 24, v[8:9]
	v_mov_b32_e32 v1, v6
	s_delay_alu instid0(VALU_DEP_1) | instskip(NEXT) | instid1(VALU_DEP_1)
	v_mad_co_u64_u32 v[1:2], null, v2, 24, v[1:2]
	v_mov_b32_e32 v6, v1
	global_load_b64 v[1:2], v[5:6], off scope:SCOPE_SYS
	s_wait_loadcnt 0x0
	global_atomic_cmpswap_b64 v[6:7], v0, v[1:4], s[6:7] offset:24 th:TH_ATOMIC_RETURN scope:SCOPE_SYS
	s_wait_loadcnt 0x0
	global_inv scope:SCOPE_SYS
	v_cmp_eq_u64_e32 vcc_lo, v[6:7], v[3:4]
	s_wait_alu 0xfffe
	s_or_b32 s9, vcc_lo, s9
	s_wait_alu 0xfffe
	s_and_not1_b32 exec_lo, exec_lo, s9
	s_cbranch_execnz .LBB4_218
; %bb.219:
	s_or_b32 exec_lo, exec_lo, s9
.LBB4_220:
	s_wait_alu 0xfffe
	s_or_b32 exec_lo, exec_lo, s8
.LBB4_221:
	s_wait_alu 0xfffe
	s_or_b32 exec_lo, exec_lo, s3
	v_readfirstlane_b32 s8, v6
	v_mov_b32_e32 v5, 0
	v_readfirstlane_b32 s9, v7
	s_mov_b32 s3, exec_lo
	s_clause 0x1
	global_load_b64 v[8:9], v5, s[6:7] offset:40
	global_load_b128 v[0:3], v5, s[6:7]
	s_wait_loadcnt 0x1
	s_wait_alu 0xf1ff
	v_and_b32_e32 v11, s9, v9
	v_and_b32_e32 v10, s8, v8
	s_delay_alu instid0(VALU_DEP_2) | instskip(NEXT) | instid1(VALU_DEP_2)
	v_mul_lo_u32 v4, 24, v11
	v_mul_lo_u32 v6, 0, v10
	v_mul_hi_u32 v7, 24, v10
	v_mul_lo_u32 v8, 24, v10
	s_delay_alu instid0(VALU_DEP_3) | instskip(SKIP_1) | instid1(VALU_DEP_2)
	v_add_nc_u32_e32 v4, v4, v6
	s_wait_loadcnt 0x0
	v_add_co_u32 v8, vcc_lo, v0, v8
	s_delay_alu instid0(VALU_DEP_2) | instskip(SKIP_1) | instid1(VALU_DEP_1)
	v_add_nc_u32_e32 v4, v4, v7
	s_wait_alu 0xfffd
	v_add_co_ci_u32_e64 v9, null, v1, v4, vcc_lo
	s_and_saveexec_b32 s10, s2
	s_cbranch_execz .LBB4_223
; %bb.222:
	s_wait_alu 0xfffe
	v_dual_mov_b32 v4, s3 :: v_dual_mov_b32 v7, 1
	v_mov_b32_e32 v6, 2
	global_store_b128 v[8:9], v[4:7], off offset:8
.LBB4_223:
	s_wait_alu 0xfffe
	s_or_b32 exec_lo, exec_lo, s10
	v_lshlrev_b64_e32 v[10:11], 12, v[10:11]
	s_mov_b32 s12, 0
	v_dual_mov_b32 v4, 33 :: v_dual_mov_b32 v7, v5
	s_wait_alu 0xfffe
	s_mov_b32 s13, s12
	s_mov_b32 s14, s12
	v_add_co_u32 v2, vcc_lo, v2, v10
	s_wait_alu 0xfffd
	v_add_co_ci_u32_e64 v3, null, v3, v11, vcc_lo
	s_mov_b32 s15, s12
	v_add_co_u32 v10, vcc_lo, v2, v32
	v_mov_b32_e32 v6, v5
	v_readfirstlane_b32 s10, v2
	v_readfirstlane_b32 s11, v3
	s_wait_alu 0xfffe
	v_dual_mov_b32 v12, s12 :: v_dual_mov_b32 v15, s15
	s_wait_alu 0xfffd
	v_add_co_ci_u32_e64 v11, null, 0, v3, vcc_lo
	v_dual_mov_b32 v13, s13 :: v_dual_mov_b32 v14, s14
	s_clause 0x3
	global_store_b128 v32, v[4:7], s[10:11]
	global_store_b128 v32, v[12:15], s[10:11] offset:16
	global_store_b128 v32, v[12:15], s[10:11] offset:32
	;; [unrolled: 1-line block ×3, first 2 shown]
	s_and_saveexec_b32 s3, s2
	s_cbranch_execz .LBB4_231
; %bb.224:
	v_mov_b32_e32 v6, 0
	s_mov_b32 s10, exec_lo
	s_clause 0x1
	global_load_b64 v[14:15], v6, s[6:7] offset:32 scope:SCOPE_SYS
	global_load_b64 v[2:3], v6, s[6:7] offset:40
	v_dual_mov_b32 v13, s9 :: v_dual_mov_b32 v12, s8
	s_wait_loadcnt 0x0
	v_and_b32_e32 v3, s9, v3
	v_and_b32_e32 v2, s8, v2
	s_delay_alu instid0(VALU_DEP_2) | instskip(NEXT) | instid1(VALU_DEP_2)
	v_mul_lo_u32 v3, 24, v3
	v_mul_lo_u32 v4, 0, v2
	v_mul_hi_u32 v5, 24, v2
	v_mul_lo_u32 v2, 24, v2
	s_delay_alu instid0(VALU_DEP_3) | instskip(NEXT) | instid1(VALU_DEP_2)
	v_add_nc_u32_e32 v3, v3, v4
	v_add_co_u32 v4, vcc_lo, v0, v2
	s_delay_alu instid0(VALU_DEP_2) | instskip(SKIP_1) | instid1(VALU_DEP_1)
	v_add_nc_u32_e32 v3, v3, v5
	s_wait_alu 0xfffd
	v_add_co_ci_u32_e64 v5, null, v1, v3, vcc_lo
	global_store_b64 v[4:5], v[14:15], off
	global_wb scope:SCOPE_SYS
	s_wait_storecnt 0x0
	global_atomic_cmpswap_b64 v[2:3], v6, v[12:15], s[6:7] offset:32 th:TH_ATOMIC_RETURN scope:SCOPE_SYS
	s_wait_loadcnt 0x0
	v_cmpx_ne_u64_e64 v[2:3], v[14:15]
	s_cbranch_execz .LBB4_227
; %bb.225:
	s_mov_b32 s11, 0
.LBB4_226:                              ; =>This Inner Loop Header: Depth=1
	v_dual_mov_b32 v0, s8 :: v_dual_mov_b32 v1, s9
	s_sleep 1
	global_store_b64 v[4:5], v[2:3], off
	global_wb scope:SCOPE_SYS
	s_wait_storecnt 0x0
	global_atomic_cmpswap_b64 v[0:1], v6, v[0:3], s[6:7] offset:32 th:TH_ATOMIC_RETURN scope:SCOPE_SYS
	s_wait_loadcnt 0x0
	v_cmp_eq_u64_e32 vcc_lo, v[0:1], v[2:3]
	v_dual_mov_b32 v3, v1 :: v_dual_mov_b32 v2, v0
	s_wait_alu 0xfffe
	s_or_b32 s11, vcc_lo, s11
	s_wait_alu 0xfffe
	s_and_not1_b32 exec_lo, exec_lo, s11
	s_cbranch_execnz .LBB4_226
.LBB4_227:
	s_wait_alu 0xfffe
	s_or_b32 exec_lo, exec_lo, s10
	v_mov_b32_e32 v3, 0
	s_mov_b32 s11, exec_lo
	s_mov_b32 s10, exec_lo
	s_wait_alu 0xfffe
	v_mbcnt_lo_u32_b32 v2, s11, 0
	global_load_b64 v[0:1], v3, s[6:7] offset:16
	v_cmpx_eq_u32_e32 0, v2
	s_cbranch_execz .LBB4_229
; %bb.228:
	s_bcnt1_i32_b32 s11, s11
	s_wait_alu 0xfffe
	v_mov_b32_e32 v2, s11
	global_wb scope:SCOPE_SYS
	s_wait_loadcnt 0x0
	s_wait_storecnt 0x0
	global_atomic_add_u64 v[0:1], v[2:3], off offset:8 scope:SCOPE_SYS
.LBB4_229:
	s_or_b32 exec_lo, exec_lo, s10
	s_wait_loadcnt 0x0
	global_load_b64 v[2:3], v[0:1], off offset:16
	s_wait_loadcnt 0x0
	v_cmp_eq_u64_e32 vcc_lo, 0, v[2:3]
	s_cbranch_vccnz .LBB4_231
; %bb.230:
	global_load_b32 v0, v[0:1], off offset:24
	v_mov_b32_e32 v1, 0
	s_wait_loadcnt 0x0
	v_readfirstlane_b32 s10, v0
	global_wb scope:SCOPE_SYS
	s_wait_storecnt 0x0
	global_store_b64 v[2:3], v[0:1], off scope:SCOPE_SYS
	s_and_b32 m0, s10, 0xffffff
	s_sendmsg sendmsg(MSG_INTERRUPT)
.LBB4_231:
	s_wait_alu 0xfffe
	s_or_b32 exec_lo, exec_lo, s3
	s_branch .LBB4_235
.LBB4_232:                              ;   in Loop: Header=BB4_235 Depth=1
	s_wait_alu 0xfffe
	s_or_b32 exec_lo, exec_lo, s3
	s_delay_alu instid0(VALU_DEP_1)
	v_readfirstlane_b32 s3, v0
	s_cmp_eq_u32 s3, 0
	s_cbranch_scc1 .LBB4_234
; %bb.233:                              ;   in Loop: Header=BB4_235 Depth=1
	s_sleep 1
	s_cbranch_execnz .LBB4_235
	s_branch .LBB4_237
.LBB4_234:
	s_branch .LBB4_237
.LBB4_235:                              ; =>This Inner Loop Header: Depth=1
	v_mov_b32_e32 v0, 1
	s_and_saveexec_b32 s3, s2
	s_cbranch_execz .LBB4_232
; %bb.236:                              ;   in Loop: Header=BB4_235 Depth=1
	global_load_b32 v0, v[8:9], off offset:20 scope:SCOPE_SYS
	s_wait_loadcnt 0x0
	global_inv scope:SCOPE_SYS
	v_and_b32_e32 v0, 1, v0
	s_branch .LBB4_232
.LBB4_237:
	global_load_b64 v[0:1], v[10:11], off
	s_and_saveexec_b32 s10, s2
	s_cbranch_execz .LBB4_241
; %bb.238:
	v_mov_b32_e32 v8, 0
	s_clause 0x2
	global_load_b64 v[2:3], v8, s[6:7] offset:40
	global_load_b64 v[11:12], v8, s[6:7] offset:24 scope:SCOPE_SYS
	global_load_b64 v[4:5], v8, s[6:7]
	s_wait_loadcnt 0x2
	v_readfirstlane_b32 s12, v2
	v_readfirstlane_b32 s13, v3
	s_add_nc_u64 s[2:3], s[12:13], 1
	s_wait_alu 0xfffe
	s_add_nc_u64 s[8:9], s[2:3], s[8:9]
	s_wait_alu 0xfffe
	s_cmp_eq_u64 s[8:9], 0
	s_cselect_b32 s3, s3, s9
	s_cselect_b32 s2, s2, s8
	s_wait_alu 0xfffe
	v_mov_b32_e32 v10, s3
	s_and_b64 s[8:9], s[2:3], s[12:13]
	v_mov_b32_e32 v9, s2
	s_wait_alu 0xfffe
	s_mul_u64 s[8:9], s[8:9], 24
	s_wait_loadcnt 0x0
	s_wait_alu 0xfffe
	v_add_co_u32 v6, vcc_lo, v4, s8
	s_wait_alu 0xfffd
	v_add_co_ci_u32_e64 v7, null, s9, v5, vcc_lo
	global_store_b64 v[6:7], v[11:12], off
	global_wb scope:SCOPE_SYS
	s_wait_storecnt 0x0
	global_atomic_cmpswap_b64 v[4:5], v8, v[9:12], s[6:7] offset:24 th:TH_ATOMIC_RETURN scope:SCOPE_SYS
	s_wait_loadcnt 0x0
	v_cmp_ne_u64_e32 vcc_lo, v[4:5], v[11:12]
	s_and_b32 exec_lo, exec_lo, vcc_lo
	s_cbranch_execz .LBB4_241
; %bb.239:
	s_mov_b32 s8, 0
.LBB4_240:                              ; =>This Inner Loop Header: Depth=1
	v_dual_mov_b32 v2, s2 :: v_dual_mov_b32 v3, s3
	s_sleep 1
	global_store_b64 v[6:7], v[4:5], off
	global_wb scope:SCOPE_SYS
	s_wait_storecnt 0x0
	global_atomic_cmpswap_b64 v[2:3], v8, v[2:5], s[6:7] offset:24 th:TH_ATOMIC_RETURN scope:SCOPE_SYS
	s_wait_loadcnt 0x0
	v_cmp_eq_u64_e32 vcc_lo, v[2:3], v[4:5]
	v_dual_mov_b32 v5, v3 :: v_dual_mov_b32 v4, v2
	s_wait_alu 0xfffe
	s_or_b32 s8, vcc_lo, s8
	s_wait_alu 0xfffe
	s_and_not1_b32 exec_lo, exec_lo, s8
	s_cbranch_execnz .LBB4_240
.LBB4_241:
	s_wait_alu 0xfffe
	s_or_b32 exec_lo, exec_lo, s10
	s_getpc_b64 s[8:9]
	s_wait_alu 0xfffe
	s_sext_i32_i16 s9, s9
	s_add_co_u32 s8, s8, .str.1@rel32@lo+12
	s_wait_alu 0xfffe
	s_add_co_ci_u32 s9, s9, .str.1@rel32@hi+24
	s_wait_alu 0xfffe
	s_cmp_lg_u64 s[8:9], 0
	s_cbranch_scc0 .LBB4_320
; %bb.242:
	s_wait_loadcnt 0x0
	v_dual_mov_b32 v7, 0 :: v_dual_and_b32 v34, 2, v0
	v_dual_mov_b32 v3, v1 :: v_dual_and_b32 v2, -3, v0
	v_dual_mov_b32 v8, 2 :: v_dual_mov_b32 v9, 1
	s_mov_b64 s[10:11], 48
	s_branch .LBB4_244
.LBB4_243:                              ;   in Loop: Header=BB4_244 Depth=1
	s_wait_alu 0xfffe
	s_or_b32 exec_lo, exec_lo, s16
	s_sub_nc_u64 s[10:11], s[10:11], s[12:13]
	s_add_nc_u64 s[8:9], s[8:9], s[12:13]
	s_wait_alu 0xfffe
	s_cmp_lg_u64 s[10:11], 0
	s_cbranch_scc0 .LBB4_319
.LBB4_244:                              ; =>This Loop Header: Depth=1
                                        ;     Child Loop BB4_247 Depth 2
                                        ;     Child Loop BB4_254 Depth 2
	;; [unrolled: 1-line block ×11, first 2 shown]
	s_wait_alu 0xfffe
	v_cmp_lt_u64_e64 s2, s[10:11], 56
	v_cmp_gt_u64_e64 s3, s[10:11], 7
	s_and_b32 s2, s2, exec_lo
	s_cselect_b32 s13, s11, 0
	s_cselect_b32 s12, s10, 56
	s_and_b32 vcc_lo, exec_lo, s3
	s_wait_alu 0xfffe
	s_cbranch_vccnz .LBB4_249
; %bb.245:                              ;   in Loop: Header=BB4_244 Depth=1
	v_mov_b32_e32 v4, 0
	v_mov_b32_e32 v5, 0
	s_cmp_eq_u64 s[10:11], 0
	s_cbranch_scc1 .LBB4_248
; %bb.246:                              ;   in Loop: Header=BB4_244 Depth=1
	s_mov_b64 s[2:3], 0
	s_mov_b64 s[14:15], 0
.LBB4_247:                              ;   Parent Loop BB4_244 Depth=1
                                        ; =>  This Inner Loop Header: Depth=2
	s_wait_alu 0xfffe
	s_add_nc_u64 s[16:17], s[8:9], s[14:15]
	s_add_nc_u64 s[14:15], s[14:15], 1
	global_load_u8 v6, v7, s[16:17]
	s_wait_alu 0xfffe
	s_cmp_lg_u32 s12, s14
	s_wait_loadcnt 0x0
	v_and_b32_e32 v6, 0xffff, v6
	s_delay_alu instid0(VALU_DEP_1) | instskip(SKIP_1) | instid1(VALU_DEP_1)
	v_lshlrev_b64_e32 v[10:11], s2, v[6:7]
	s_add_nc_u64 s[2:3], s[2:3], 8
	v_or_b32_e32 v4, v10, v4
	s_delay_alu instid0(VALU_DEP_2)
	v_or_b32_e32 v5, v11, v5
	s_cbranch_scc1 .LBB4_247
.LBB4_248:                              ;   in Loop: Header=BB4_244 Depth=1
	s_mov_b64 s[14:15], s[8:9]
	s_mov_b32 s18, 0
	s_cbranch_execz .LBB4_250
	s_branch .LBB4_251
.LBB4_249:                              ;   in Loop: Header=BB4_244 Depth=1
	s_add_nc_u64 s[14:15], s[8:9], 8
	s_mov_b32 s18, 0
.LBB4_250:                              ;   in Loop: Header=BB4_244 Depth=1
	global_load_b64 v[4:5], v7, s[8:9]
	s_add_co_i32 s18, s12, -8
.LBB4_251:                              ;   in Loop: Header=BB4_244 Depth=1
	s_wait_alu 0xfffe
	s_cmp_gt_u32 s18, 7
	s_cbranch_scc1 .LBB4_256
; %bb.252:                              ;   in Loop: Header=BB4_244 Depth=1
	v_mov_b32_e32 v10, 0
	v_mov_b32_e32 v11, 0
	s_cmp_eq_u32 s18, 0
	s_cbranch_scc1 .LBB4_255
; %bb.253:                              ;   in Loop: Header=BB4_244 Depth=1
	s_mov_b64 s[2:3], 0
	s_mov_b64 s[16:17], 0
.LBB4_254:                              ;   Parent Loop BB4_244 Depth=1
                                        ; =>  This Inner Loop Header: Depth=2
	s_wait_alu 0xfffe
	s_add_nc_u64 s[24:25], s[14:15], s[16:17]
	s_add_nc_u64 s[16:17], s[16:17], 1
	global_load_u8 v6, v7, s[24:25]
	s_wait_alu 0xfffe
	s_cmp_lg_u32 s18, s16
	s_wait_loadcnt 0x0
	v_and_b32_e32 v6, 0xffff, v6
	s_delay_alu instid0(VALU_DEP_1) | instskip(SKIP_1) | instid1(VALU_DEP_1)
	v_lshlrev_b64_e32 v[12:13], s2, v[6:7]
	s_add_nc_u64 s[2:3], s[2:3], 8
	v_or_b32_e32 v10, v12, v10
	s_delay_alu instid0(VALU_DEP_2)
	v_or_b32_e32 v11, v13, v11
	s_cbranch_scc1 .LBB4_254
.LBB4_255:                              ;   in Loop: Header=BB4_244 Depth=1
	s_mov_b64 s[2:3], s[14:15]
	s_mov_b32 s19, 0
	s_cbranch_execz .LBB4_257
	s_branch .LBB4_258
.LBB4_256:                              ;   in Loop: Header=BB4_244 Depth=1
	s_add_nc_u64 s[2:3], s[14:15], 8
                                        ; implicit-def: $vgpr10_vgpr11
	s_mov_b32 s19, 0
.LBB4_257:                              ;   in Loop: Header=BB4_244 Depth=1
	global_load_b64 v[10:11], v7, s[14:15]
	s_add_co_i32 s19, s18, -8
.LBB4_258:                              ;   in Loop: Header=BB4_244 Depth=1
	s_wait_alu 0xfffe
	s_cmp_gt_u32 s19, 7
	s_cbranch_scc1 .LBB4_263
; %bb.259:                              ;   in Loop: Header=BB4_244 Depth=1
	v_mov_b32_e32 v12, 0
	v_mov_b32_e32 v13, 0
	s_cmp_eq_u32 s19, 0
	s_cbranch_scc1 .LBB4_262
; %bb.260:                              ;   in Loop: Header=BB4_244 Depth=1
	s_mov_b64 s[14:15], 0
	s_mov_b64 s[16:17], 0
.LBB4_261:                              ;   Parent Loop BB4_244 Depth=1
                                        ; =>  This Inner Loop Header: Depth=2
	s_wait_alu 0xfffe
	s_add_nc_u64 s[24:25], s[2:3], s[16:17]
	s_add_nc_u64 s[16:17], s[16:17], 1
	global_load_u8 v6, v7, s[24:25]
	s_wait_alu 0xfffe
	s_cmp_lg_u32 s19, s16
	s_wait_loadcnt 0x0
	v_and_b32_e32 v6, 0xffff, v6
	s_delay_alu instid0(VALU_DEP_1) | instskip(SKIP_1) | instid1(VALU_DEP_1)
	v_lshlrev_b64_e32 v[14:15], s14, v[6:7]
	s_add_nc_u64 s[14:15], s[14:15], 8
	v_or_b32_e32 v12, v14, v12
	s_delay_alu instid0(VALU_DEP_2)
	v_or_b32_e32 v13, v15, v13
	s_cbranch_scc1 .LBB4_261
.LBB4_262:                              ;   in Loop: Header=BB4_244 Depth=1
	s_mov_b64 s[14:15], s[2:3]
	s_mov_b32 s18, 0
	s_cbranch_execz .LBB4_264
	s_branch .LBB4_265
.LBB4_263:                              ;   in Loop: Header=BB4_244 Depth=1
	s_add_nc_u64 s[14:15], s[2:3], 8
	s_mov_b32 s18, 0
.LBB4_264:                              ;   in Loop: Header=BB4_244 Depth=1
	global_load_b64 v[12:13], v7, s[2:3]
	s_add_co_i32 s18, s19, -8
.LBB4_265:                              ;   in Loop: Header=BB4_244 Depth=1
	s_wait_alu 0xfffe
	s_cmp_gt_u32 s18, 7
	s_cbranch_scc1 .LBB4_270
; %bb.266:                              ;   in Loop: Header=BB4_244 Depth=1
	v_mov_b32_e32 v14, 0
	v_mov_b32_e32 v15, 0
	s_cmp_eq_u32 s18, 0
	s_cbranch_scc1 .LBB4_269
; %bb.267:                              ;   in Loop: Header=BB4_244 Depth=1
	s_mov_b64 s[2:3], 0
	s_mov_b64 s[16:17], 0
.LBB4_268:                              ;   Parent Loop BB4_244 Depth=1
                                        ; =>  This Inner Loop Header: Depth=2
	s_wait_alu 0xfffe
	s_add_nc_u64 s[24:25], s[14:15], s[16:17]
	s_add_nc_u64 s[16:17], s[16:17], 1
	global_load_u8 v6, v7, s[24:25]
	s_wait_alu 0xfffe
	s_cmp_lg_u32 s18, s16
	s_wait_loadcnt 0x0
	v_and_b32_e32 v6, 0xffff, v6
	s_delay_alu instid0(VALU_DEP_1) | instskip(SKIP_1) | instid1(VALU_DEP_1)
	v_lshlrev_b64_e32 v[16:17], s2, v[6:7]
	s_add_nc_u64 s[2:3], s[2:3], 8
	v_or_b32_e32 v14, v16, v14
	s_delay_alu instid0(VALU_DEP_2)
	v_or_b32_e32 v15, v17, v15
	s_cbranch_scc1 .LBB4_268
.LBB4_269:                              ;   in Loop: Header=BB4_244 Depth=1
	s_mov_b64 s[2:3], s[14:15]
	s_mov_b32 s19, 0
	s_cbranch_execz .LBB4_271
	s_branch .LBB4_272
.LBB4_270:                              ;   in Loop: Header=BB4_244 Depth=1
	s_add_nc_u64 s[2:3], s[14:15], 8
                                        ; implicit-def: $vgpr14_vgpr15
	s_mov_b32 s19, 0
.LBB4_271:                              ;   in Loop: Header=BB4_244 Depth=1
	global_load_b64 v[14:15], v7, s[14:15]
	s_add_co_i32 s19, s18, -8
.LBB4_272:                              ;   in Loop: Header=BB4_244 Depth=1
	s_wait_alu 0xfffe
	s_cmp_gt_u32 s19, 7
	s_cbranch_scc1 .LBB4_277
; %bb.273:                              ;   in Loop: Header=BB4_244 Depth=1
	v_mov_b32_e32 v16, 0
	v_mov_b32_e32 v17, 0
	s_cmp_eq_u32 s19, 0
	s_cbranch_scc1 .LBB4_276
; %bb.274:                              ;   in Loop: Header=BB4_244 Depth=1
	s_mov_b64 s[14:15], 0
	s_mov_b64 s[16:17], 0
.LBB4_275:                              ;   Parent Loop BB4_244 Depth=1
                                        ; =>  This Inner Loop Header: Depth=2
	s_wait_alu 0xfffe
	s_add_nc_u64 s[24:25], s[2:3], s[16:17]
	s_add_nc_u64 s[16:17], s[16:17], 1
	global_load_u8 v6, v7, s[24:25]
	s_wait_alu 0xfffe
	s_cmp_lg_u32 s19, s16
	s_wait_loadcnt 0x0
	v_and_b32_e32 v6, 0xffff, v6
	s_delay_alu instid0(VALU_DEP_1) | instskip(SKIP_1) | instid1(VALU_DEP_1)
	v_lshlrev_b64_e32 v[18:19], s14, v[6:7]
	s_add_nc_u64 s[14:15], s[14:15], 8
	v_or_b32_e32 v16, v18, v16
	s_delay_alu instid0(VALU_DEP_2)
	v_or_b32_e32 v17, v19, v17
	s_cbranch_scc1 .LBB4_275
.LBB4_276:                              ;   in Loop: Header=BB4_244 Depth=1
	s_mov_b64 s[14:15], s[2:3]
	s_mov_b32 s18, 0
	s_cbranch_execz .LBB4_278
	s_branch .LBB4_279
.LBB4_277:                              ;   in Loop: Header=BB4_244 Depth=1
	s_add_nc_u64 s[14:15], s[2:3], 8
	s_mov_b32 s18, 0
.LBB4_278:                              ;   in Loop: Header=BB4_244 Depth=1
	global_load_b64 v[16:17], v7, s[2:3]
	s_add_co_i32 s18, s19, -8
.LBB4_279:                              ;   in Loop: Header=BB4_244 Depth=1
	s_wait_alu 0xfffe
	s_cmp_gt_u32 s18, 7
	s_cbranch_scc1 .LBB4_284
; %bb.280:                              ;   in Loop: Header=BB4_244 Depth=1
	v_mov_b32_e32 v18, 0
	v_mov_b32_e32 v19, 0
	s_cmp_eq_u32 s18, 0
	s_cbranch_scc1 .LBB4_283
; %bb.281:                              ;   in Loop: Header=BB4_244 Depth=1
	s_mov_b64 s[2:3], 0
	s_mov_b64 s[16:17], 0
.LBB4_282:                              ;   Parent Loop BB4_244 Depth=1
                                        ; =>  This Inner Loop Header: Depth=2
	s_wait_alu 0xfffe
	s_add_nc_u64 s[24:25], s[14:15], s[16:17]
	s_add_nc_u64 s[16:17], s[16:17], 1
	global_load_u8 v6, v7, s[24:25]
	s_wait_alu 0xfffe
	s_cmp_lg_u32 s18, s16
	s_wait_loadcnt 0x0
	v_and_b32_e32 v6, 0xffff, v6
	s_delay_alu instid0(VALU_DEP_1) | instskip(SKIP_1) | instid1(VALU_DEP_1)
	v_lshlrev_b64_e32 v[20:21], s2, v[6:7]
	s_add_nc_u64 s[2:3], s[2:3], 8
	v_or_b32_e32 v18, v20, v18
	s_delay_alu instid0(VALU_DEP_2)
	v_or_b32_e32 v19, v21, v19
	s_cbranch_scc1 .LBB4_282
.LBB4_283:                              ;   in Loop: Header=BB4_244 Depth=1
	s_mov_b64 s[2:3], s[14:15]
	s_mov_b32 s19, 0
	s_cbranch_execz .LBB4_285
	s_branch .LBB4_286
.LBB4_284:                              ;   in Loop: Header=BB4_244 Depth=1
	s_add_nc_u64 s[2:3], s[14:15], 8
                                        ; implicit-def: $vgpr18_vgpr19
	s_mov_b32 s19, 0
.LBB4_285:                              ;   in Loop: Header=BB4_244 Depth=1
	global_load_b64 v[18:19], v7, s[14:15]
	s_add_co_i32 s19, s18, -8
.LBB4_286:                              ;   in Loop: Header=BB4_244 Depth=1
	s_wait_alu 0xfffe
	s_cmp_gt_u32 s19, 7
	s_cbranch_scc1 .LBB4_291
; %bb.287:                              ;   in Loop: Header=BB4_244 Depth=1
	v_mov_b32_e32 v20, 0
	v_mov_b32_e32 v21, 0
	s_cmp_eq_u32 s19, 0
	s_cbranch_scc1 .LBB4_290
; %bb.288:                              ;   in Loop: Header=BB4_244 Depth=1
	s_mov_b64 s[14:15], 0
	s_mov_b64 s[16:17], s[2:3]
.LBB4_289:                              ;   Parent Loop BB4_244 Depth=1
                                        ; =>  This Inner Loop Header: Depth=2
	global_load_u8 v6, v7, s[16:17]
	s_add_co_i32 s19, s19, -1
	s_wait_alu 0xfffe
	s_add_nc_u64 s[16:17], s[16:17], 1
	s_cmp_lg_u32 s19, 0
	s_wait_loadcnt 0x0
	v_and_b32_e32 v6, 0xffff, v6
	s_delay_alu instid0(VALU_DEP_1) | instskip(SKIP_1) | instid1(VALU_DEP_1)
	v_lshlrev_b64_e32 v[22:23], s14, v[6:7]
	s_add_nc_u64 s[14:15], s[14:15], 8
	v_or_b32_e32 v20, v22, v20
	s_delay_alu instid0(VALU_DEP_2)
	v_or_b32_e32 v21, v23, v21
	s_cbranch_scc1 .LBB4_289
.LBB4_290:                              ;   in Loop: Header=BB4_244 Depth=1
	s_cbranch_execz .LBB4_292
	s_branch .LBB4_293
.LBB4_291:                              ;   in Loop: Header=BB4_244 Depth=1
.LBB4_292:                              ;   in Loop: Header=BB4_244 Depth=1
	global_load_b64 v[20:21], v7, s[2:3]
.LBB4_293:                              ;   in Loop: Header=BB4_244 Depth=1
	v_readfirstlane_b32 s2, v33
	v_mov_b32_e32 v27, 0
	v_mov_b32_e32 v28, 0
	s_wait_alu 0xf1ff
	s_delay_alu instid0(VALU_DEP_3)
	v_cmp_eq_u32_e64 s2, s2, v33
	s_and_saveexec_b32 s3, s2
	s_cbranch_execz .LBB4_299
; %bb.294:                              ;   in Loop: Header=BB4_244 Depth=1
	global_load_b64 v[24:25], v7, s[6:7] offset:24 scope:SCOPE_SYS
	s_wait_loadcnt 0x0
	global_inv scope:SCOPE_SYS
	s_clause 0x1
	global_load_b64 v[22:23], v7, s[6:7] offset:40
	global_load_b64 v[27:28], v7, s[6:7]
	s_mov_b32 s14, exec_lo
	s_wait_loadcnt 0x1
	v_and_b32_e32 v6, v23, v25
	v_and_b32_e32 v22, v22, v24
	s_delay_alu instid0(VALU_DEP_2) | instskip(NEXT) | instid1(VALU_DEP_2)
	v_mul_lo_u32 v6, 24, v6
	v_mul_lo_u32 v23, 0, v22
	v_mul_hi_u32 v29, 24, v22
	v_mul_lo_u32 v22, 24, v22
	s_delay_alu instid0(VALU_DEP_3) | instskip(SKIP_1) | instid1(VALU_DEP_2)
	v_add_nc_u32_e32 v6, v6, v23
	s_wait_loadcnt 0x0
	v_add_co_u32 v22, vcc_lo, v27, v22
	s_delay_alu instid0(VALU_DEP_2) | instskip(SKIP_1) | instid1(VALU_DEP_1)
	v_add_nc_u32_e32 v6, v6, v29
	s_wait_alu 0xfffd
	v_add_co_ci_u32_e64 v23, null, v28, v6, vcc_lo
	global_load_b64 v[22:23], v[22:23], off scope:SCOPE_SYS
	s_wait_loadcnt 0x0
	global_atomic_cmpswap_b64 v[27:28], v7, v[22:25], s[6:7] offset:24 th:TH_ATOMIC_RETURN scope:SCOPE_SYS
	s_wait_loadcnt 0x0
	global_inv scope:SCOPE_SYS
	v_cmpx_ne_u64_e64 v[27:28], v[24:25]
	s_cbranch_execz .LBB4_298
; %bb.295:                              ;   in Loop: Header=BB4_244 Depth=1
	s_mov_b32 s15, 0
.LBB4_296:                              ;   Parent Loop BB4_244 Depth=1
                                        ; =>  This Inner Loop Header: Depth=2
	s_sleep 1
	s_clause 0x1
	global_load_b64 v[22:23], v7, s[6:7] offset:40
	global_load_b64 v[29:30], v7, s[6:7]
	v_dual_mov_b32 v24, v27 :: v_dual_mov_b32 v25, v28
	s_wait_loadcnt 0x1
	s_delay_alu instid0(VALU_DEP_1) | instskip(NEXT) | instid1(VALU_DEP_2)
	v_and_b32_e32 v6, v22, v24
	v_and_b32_e32 v22, v23, v25
	s_wait_loadcnt 0x0
	s_delay_alu instid0(VALU_DEP_2) | instskip(NEXT) | instid1(VALU_DEP_1)
	v_mad_co_u64_u32 v[27:28], null, v6, 24, v[29:30]
	v_mov_b32_e32 v6, v28
	s_delay_alu instid0(VALU_DEP_1) | instskip(NEXT) | instid1(VALU_DEP_1)
	v_mad_co_u64_u32 v[22:23], null, v22, 24, v[6:7]
	v_mov_b32_e32 v28, v22
	global_load_b64 v[22:23], v[27:28], off scope:SCOPE_SYS
	s_wait_loadcnt 0x0
	global_atomic_cmpswap_b64 v[27:28], v7, v[22:25], s[6:7] offset:24 th:TH_ATOMIC_RETURN scope:SCOPE_SYS
	s_wait_loadcnt 0x0
	global_inv scope:SCOPE_SYS
	v_cmp_eq_u64_e32 vcc_lo, v[27:28], v[24:25]
	s_wait_alu 0xfffe
	s_or_b32 s15, vcc_lo, s15
	s_wait_alu 0xfffe
	s_and_not1_b32 exec_lo, exec_lo, s15
	s_cbranch_execnz .LBB4_296
; %bb.297:                              ;   in Loop: Header=BB4_244 Depth=1
	s_or_b32 exec_lo, exec_lo, s15
.LBB4_298:                              ;   in Loop: Header=BB4_244 Depth=1
	s_wait_alu 0xfffe
	s_or_b32 exec_lo, exec_lo, s14
.LBB4_299:                              ;   in Loop: Header=BB4_244 Depth=1
	s_wait_alu 0xfffe
	s_or_b32 exec_lo, exec_lo, s3
	s_clause 0x1
	global_load_b64 v[29:30], v7, s[6:7] offset:40
	global_load_b128 v[22:25], v7, s[6:7]
	v_readfirstlane_b32 s15, v28
	v_readfirstlane_b32 s14, v27
	s_mov_b32 s3, exec_lo
	s_wait_loadcnt 0x1
	s_wait_alu 0xf1ff
	v_and_b32_e32 v30, s15, v30
	v_and_b32_e32 v29, s14, v29
	s_delay_alu instid0(VALU_DEP_2) | instskip(NEXT) | instid1(VALU_DEP_2)
	v_mul_lo_u32 v6, 24, v30
	v_mul_lo_u32 v27, 0, v29
	v_mul_hi_u32 v28, 24, v29
	v_mul_lo_u32 v35, 24, v29
	s_delay_alu instid0(VALU_DEP_3) | instskip(SKIP_1) | instid1(VALU_DEP_2)
	v_add_nc_u32_e32 v6, v6, v27
	s_wait_loadcnt 0x0
	v_add_co_u32 v27, vcc_lo, v22, v35
	s_delay_alu instid0(VALU_DEP_2) | instskip(SKIP_1) | instid1(VALU_DEP_1)
	v_add_nc_u32_e32 v6, v6, v28
	s_wait_alu 0xfffd
	v_add_co_ci_u32_e64 v28, null, v23, v6, vcc_lo
	s_and_saveexec_b32 s16, s2
	s_cbranch_execz .LBB4_301
; %bb.300:                              ;   in Loop: Header=BB4_244 Depth=1
	s_wait_alu 0xfffe
	v_mov_b32_e32 v6, s3
	global_store_b128 v[27:28], v[6:9], off offset:8
.LBB4_301:                              ;   in Loop: Header=BB4_244 Depth=1
	s_wait_alu 0xfffe
	s_or_b32 exec_lo, exec_lo, s16
	v_cmp_lt_u64_e64 vcc_lo, s[10:11], 57
	v_lshlrev_b64_e32 v[29:30], 12, v[29:30]
	v_and_b32_e32 v2, 0xffffff1f, v2
	s_lshl_b32 s3, s12, 2
	s_wait_alu 0xfffe
	s_add_co_i32 s3, s3, 28
	s_wait_alu 0xfffd
	v_cndmask_b32_e32 v6, 0, v34, vcc_lo
	v_add_co_u32 v24, vcc_lo, v24, v29
	s_wait_alu 0xfffd
	v_add_co_ci_u32_e64 v25, null, v25, v30, vcc_lo
	s_delay_alu instid0(VALU_DEP_3) | instskip(NEXT) | instid1(VALU_DEP_3)
	v_or_b32_e32 v2, v2, v6
	v_readfirstlane_b32 s16, v24
	s_delay_alu instid0(VALU_DEP_3) | instskip(SKIP_1) | instid1(VALU_DEP_3)
	v_readfirstlane_b32 s17, v25
	s_wait_alu 0xfffe
	v_and_or_b32 v2, 0x1e0, s3, v2
	s_clause 0x3
	global_store_b128 v32, v[2:5], s[16:17]
	global_store_b128 v32, v[10:13], s[16:17] offset:16
	global_store_b128 v32, v[14:17], s[16:17] offset:32
	;; [unrolled: 1-line block ×3, first 2 shown]
	s_and_saveexec_b32 s3, s2
	s_cbranch_execz .LBB4_309
; %bb.302:                              ;   in Loop: Header=BB4_244 Depth=1
	s_clause 0x1
	global_load_b64 v[14:15], v7, s[6:7] offset:32 scope:SCOPE_SYS
	global_load_b64 v[2:3], v7, s[6:7] offset:40
	s_mov_b32 s16, exec_lo
	v_dual_mov_b32 v12, s14 :: v_dual_mov_b32 v13, s15
	s_wait_loadcnt 0x0
	v_and_b32_e32 v2, s14, v2
	v_and_b32_e32 v3, s15, v3
	s_delay_alu instid0(VALU_DEP_2) | instskip(NEXT) | instid1(VALU_DEP_2)
	v_mul_lo_u32 v4, 0, v2
	v_mul_lo_u32 v3, 24, v3
	v_mul_hi_u32 v5, 24, v2
	v_mul_lo_u32 v2, 24, v2
	s_delay_alu instid0(VALU_DEP_3) | instskip(NEXT) | instid1(VALU_DEP_2)
	v_add_nc_u32_e32 v3, v3, v4
	v_add_co_u32 v10, vcc_lo, v22, v2
	s_delay_alu instid0(VALU_DEP_2) | instskip(SKIP_1) | instid1(VALU_DEP_1)
	v_add_nc_u32_e32 v3, v3, v5
	s_wait_alu 0xfffd
	v_add_co_ci_u32_e64 v11, null, v23, v3, vcc_lo
	global_store_b64 v[10:11], v[14:15], off
	global_wb scope:SCOPE_SYS
	s_wait_storecnt 0x0
	global_atomic_cmpswap_b64 v[4:5], v7, v[12:15], s[6:7] offset:32 th:TH_ATOMIC_RETURN scope:SCOPE_SYS
	s_wait_loadcnt 0x0
	v_cmpx_ne_u64_e64 v[4:5], v[14:15]
	s_cbranch_execz .LBB4_305
; %bb.303:                              ;   in Loop: Header=BB4_244 Depth=1
	s_mov_b32 s17, 0
.LBB4_304:                              ;   Parent Loop BB4_244 Depth=1
                                        ; =>  This Inner Loop Header: Depth=2
	v_dual_mov_b32 v2, s14 :: v_dual_mov_b32 v3, s15
	s_sleep 1
	global_store_b64 v[10:11], v[4:5], off
	global_wb scope:SCOPE_SYS
	s_wait_storecnt 0x0
	global_atomic_cmpswap_b64 v[2:3], v7, v[2:5], s[6:7] offset:32 th:TH_ATOMIC_RETURN scope:SCOPE_SYS
	s_wait_loadcnt 0x0
	v_cmp_eq_u64_e32 vcc_lo, v[2:3], v[4:5]
	v_dual_mov_b32 v5, v3 :: v_dual_mov_b32 v4, v2
	s_wait_alu 0xfffe
	s_or_b32 s17, vcc_lo, s17
	s_wait_alu 0xfffe
	s_and_not1_b32 exec_lo, exec_lo, s17
	s_cbranch_execnz .LBB4_304
.LBB4_305:                              ;   in Loop: Header=BB4_244 Depth=1
	s_wait_alu 0xfffe
	s_or_b32 exec_lo, exec_lo, s16
	global_load_b64 v[2:3], v7, s[6:7] offset:16
	s_mov_b32 s17, exec_lo
	s_mov_b32 s16, exec_lo
	s_wait_alu 0xfffe
	v_mbcnt_lo_u32_b32 v4, s17, 0
	s_delay_alu instid0(VALU_DEP_1)
	v_cmpx_eq_u32_e32 0, v4
	s_cbranch_execz .LBB4_307
; %bb.306:                              ;   in Loop: Header=BB4_244 Depth=1
	s_bcnt1_i32_b32 s17, s17
	s_wait_alu 0xfffe
	v_mov_b32_e32 v6, s17
	global_wb scope:SCOPE_SYS
	s_wait_loadcnt 0x0
	s_wait_storecnt 0x0
	global_atomic_add_u64 v[2:3], v[6:7], off offset:8 scope:SCOPE_SYS
.LBB4_307:                              ;   in Loop: Header=BB4_244 Depth=1
	s_or_b32 exec_lo, exec_lo, s16
	s_wait_loadcnt 0x0
	global_load_b64 v[4:5], v[2:3], off offset:16
	s_wait_loadcnt 0x0
	v_cmp_eq_u64_e32 vcc_lo, 0, v[4:5]
	s_cbranch_vccnz .LBB4_309
; %bb.308:                              ;   in Loop: Header=BB4_244 Depth=1
	global_load_b32 v6, v[2:3], off offset:24
	s_wait_loadcnt 0x0
	v_readfirstlane_b32 s16, v6
	global_wb scope:SCOPE_SYS
	s_wait_storecnt 0x0
	global_store_b64 v[4:5], v[6:7], off scope:SCOPE_SYS
	s_and_b32 m0, s16, 0xffffff
	s_sendmsg sendmsg(MSG_INTERRUPT)
.LBB4_309:                              ;   in Loop: Header=BB4_244 Depth=1
	s_wait_alu 0xfffe
	s_or_b32 exec_lo, exec_lo, s3
	v_add_co_u32 v2, vcc_lo, v24, v32
	s_wait_alu 0xfffd
	v_add_co_ci_u32_e64 v3, null, 0, v25, vcc_lo
	s_branch .LBB4_313
.LBB4_310:                              ;   in Loop: Header=BB4_313 Depth=2
	s_wait_alu 0xfffe
	s_or_b32 exec_lo, exec_lo, s3
	s_delay_alu instid0(VALU_DEP_1)
	v_readfirstlane_b32 s3, v4
	s_cmp_eq_u32 s3, 0
	s_cbranch_scc1 .LBB4_312
; %bb.311:                              ;   in Loop: Header=BB4_313 Depth=2
	s_sleep 1
	s_cbranch_execnz .LBB4_313
	s_branch .LBB4_315
.LBB4_312:                              ;   in Loop: Header=BB4_244 Depth=1
	s_branch .LBB4_315
.LBB4_313:                              ;   Parent Loop BB4_244 Depth=1
                                        ; =>  This Inner Loop Header: Depth=2
	v_mov_b32_e32 v4, 1
	s_and_saveexec_b32 s3, s2
	s_cbranch_execz .LBB4_310
; %bb.314:                              ;   in Loop: Header=BB4_313 Depth=2
	global_load_b32 v4, v[27:28], off offset:20 scope:SCOPE_SYS
	s_wait_loadcnt 0x0
	global_inv scope:SCOPE_SYS
	v_and_b32_e32 v4, 1, v4
	s_branch .LBB4_310
.LBB4_315:                              ;   in Loop: Header=BB4_244 Depth=1
	global_load_b64 v[2:3], v[2:3], off
	s_and_saveexec_b32 s16, s2
	s_cbranch_execz .LBB4_243
; %bb.316:                              ;   in Loop: Header=BB4_244 Depth=1
	s_clause 0x2
	global_load_b64 v[4:5], v7, s[6:7] offset:40
	global_load_b64 v[14:15], v7, s[6:7] offset:24 scope:SCOPE_SYS
	global_load_b64 v[10:11], v7, s[6:7]
	s_wait_loadcnt 0x2
	v_readfirstlane_b32 s18, v4
	v_readfirstlane_b32 s19, v5
	s_add_nc_u64 s[2:3], s[18:19], 1
	s_wait_alu 0xfffe
	s_add_nc_u64 s[14:15], s[2:3], s[14:15]
	s_wait_alu 0xfffe
	s_cmp_eq_u64 s[14:15], 0
	s_cselect_b32 s3, s3, s15
	s_cselect_b32 s2, s2, s14
	s_wait_alu 0xfffe
	v_dual_mov_b32 v13, s3 :: v_dual_mov_b32 v12, s2
	s_and_b64 s[14:15], s[2:3], s[18:19]
	s_wait_alu 0xfffe
	s_mul_u64 s[14:15], s[14:15], 24
	s_wait_loadcnt 0x0
	s_wait_alu 0xfffe
	v_add_co_u32 v4, vcc_lo, v10, s14
	s_wait_alu 0xfffd
	v_add_co_ci_u32_e64 v5, null, s15, v11, vcc_lo
	global_store_b64 v[4:5], v[14:15], off
	global_wb scope:SCOPE_SYS
	s_wait_storecnt 0x0
	global_atomic_cmpswap_b64 v[12:13], v7, v[12:15], s[6:7] offset:24 th:TH_ATOMIC_RETURN scope:SCOPE_SYS
	s_wait_loadcnt 0x0
	v_cmp_ne_u64_e32 vcc_lo, v[12:13], v[14:15]
	s_and_b32 exec_lo, exec_lo, vcc_lo
	s_cbranch_execz .LBB4_243
; %bb.317:                              ;   in Loop: Header=BB4_244 Depth=1
	s_mov_b32 s14, 0
.LBB4_318:                              ;   Parent Loop BB4_244 Depth=1
                                        ; =>  This Inner Loop Header: Depth=2
	v_dual_mov_b32 v10, s2 :: v_dual_mov_b32 v11, s3
	s_sleep 1
	global_store_b64 v[4:5], v[12:13], off
	global_wb scope:SCOPE_SYS
	s_wait_storecnt 0x0
	global_atomic_cmpswap_b64 v[10:11], v7, v[10:13], s[6:7] offset:24 th:TH_ATOMIC_RETURN scope:SCOPE_SYS
	s_wait_loadcnt 0x0
	v_cmp_eq_u64_e32 vcc_lo, v[10:11], v[12:13]
	v_dual_mov_b32 v13, v11 :: v_dual_mov_b32 v12, v10
	s_wait_alu 0xfffe
	s_or_b32 s14, vcc_lo, s14
	s_wait_alu 0xfffe
	s_and_not1_b32 exec_lo, exec_lo, s14
	s_cbranch_execnz .LBB4_318
	s_branch .LBB4_243
.LBB4_319:
	s_branch .LBB4_348
.LBB4_320:
                                        ; implicit-def: $vgpr2_vgpr3
	s_cbranch_execz .LBB4_348
; %bb.321:
	v_readfirstlane_b32 s2, v33
	v_mov_b32_e32 v8, 0
	v_mov_b32_e32 v9, 0
	s_wait_alu 0xf1ff
	s_delay_alu instid0(VALU_DEP_3)
	v_cmp_eq_u32_e64 s2, s2, v33
	s_and_saveexec_b32 s3, s2
	s_cbranch_execz .LBB4_327
; %bb.322:
	s_wait_loadcnt 0x0
	v_mov_b32_e32 v2, 0
	s_mov_b32 s8, exec_lo
	global_load_b64 v[5:6], v2, s[6:7] offset:24 scope:SCOPE_SYS
	s_wait_loadcnt 0x0
	global_inv scope:SCOPE_SYS
	s_clause 0x1
	global_load_b64 v[3:4], v2, s[6:7] offset:40
	global_load_b64 v[7:8], v2, s[6:7]
	s_wait_loadcnt 0x1
	v_and_b32_e32 v4, v4, v6
	v_and_b32_e32 v3, v3, v5
	s_delay_alu instid0(VALU_DEP_2) | instskip(NEXT) | instid1(VALU_DEP_2)
	v_mul_lo_u32 v4, 24, v4
	v_mul_lo_u32 v9, 0, v3
	v_mul_hi_u32 v10, 24, v3
	v_mul_lo_u32 v3, 24, v3
	s_delay_alu instid0(VALU_DEP_3) | instskip(SKIP_1) | instid1(VALU_DEP_2)
	v_add_nc_u32_e32 v4, v4, v9
	s_wait_loadcnt 0x0
	v_add_co_u32 v3, vcc_lo, v7, v3
	s_delay_alu instid0(VALU_DEP_2) | instskip(SKIP_1) | instid1(VALU_DEP_1)
	v_add_nc_u32_e32 v4, v4, v10
	s_wait_alu 0xfffd
	v_add_co_ci_u32_e64 v4, null, v8, v4, vcc_lo
	global_load_b64 v[3:4], v[3:4], off scope:SCOPE_SYS
	s_wait_loadcnt 0x0
	global_atomic_cmpswap_b64 v[8:9], v2, v[3:6], s[6:7] offset:24 th:TH_ATOMIC_RETURN scope:SCOPE_SYS
	s_wait_loadcnt 0x0
	global_inv scope:SCOPE_SYS
	v_cmpx_ne_u64_e64 v[8:9], v[5:6]
	s_cbranch_execz .LBB4_326
; %bb.323:
	s_mov_b32 s9, 0
.LBB4_324:                              ; =>This Inner Loop Header: Depth=1
	s_sleep 1
	s_clause 0x1
	global_load_b64 v[3:4], v2, s[6:7] offset:40
	global_load_b64 v[10:11], v2, s[6:7]
	v_dual_mov_b32 v5, v8 :: v_dual_mov_b32 v6, v9
	s_wait_loadcnt 0x1
	s_delay_alu instid0(VALU_DEP_1) | instskip(NEXT) | instid1(VALU_DEP_2)
	v_and_b32_e32 v3, v3, v5
	v_and_b32_e32 v4, v4, v6
	s_wait_loadcnt 0x0
	s_delay_alu instid0(VALU_DEP_2) | instskip(NEXT) | instid1(VALU_DEP_1)
	v_mad_co_u64_u32 v[7:8], null, v3, 24, v[10:11]
	v_mov_b32_e32 v3, v8
	s_delay_alu instid0(VALU_DEP_1) | instskip(NEXT) | instid1(VALU_DEP_1)
	v_mad_co_u64_u32 v[3:4], null, v4, 24, v[3:4]
	v_mov_b32_e32 v8, v3
	global_load_b64 v[3:4], v[7:8], off scope:SCOPE_SYS
	s_wait_loadcnt 0x0
	global_atomic_cmpswap_b64 v[8:9], v2, v[3:6], s[6:7] offset:24 th:TH_ATOMIC_RETURN scope:SCOPE_SYS
	s_wait_loadcnt 0x0
	global_inv scope:SCOPE_SYS
	v_cmp_eq_u64_e32 vcc_lo, v[8:9], v[5:6]
	s_wait_alu 0xfffe
	s_or_b32 s9, vcc_lo, s9
	s_wait_alu 0xfffe
	s_and_not1_b32 exec_lo, exec_lo, s9
	s_cbranch_execnz .LBB4_324
; %bb.325:
	s_or_b32 exec_lo, exec_lo, s9
.LBB4_326:
	s_wait_alu 0xfffe
	s_or_b32 exec_lo, exec_lo, s8
.LBB4_327:
	s_wait_alu 0xfffe
	s_or_b32 exec_lo, exec_lo, s3
	v_readfirstlane_b32 s9, v9
	s_wait_loadcnt 0x0
	v_mov_b32_e32 v2, 0
	v_readfirstlane_b32 s8, v8
	s_mov_b32 s3, exec_lo
	s_clause 0x1
	global_load_b64 v[10:11], v2, s[6:7] offset:40
	global_load_b128 v[4:7], v2, s[6:7]
	s_wait_loadcnt 0x1
	s_wait_alu 0xf1ff
	v_and_b32_e32 v11, s9, v11
	v_and_b32_e32 v10, s8, v10
	s_delay_alu instid0(VALU_DEP_2) | instskip(NEXT) | instid1(VALU_DEP_2)
	v_mul_lo_u32 v3, 24, v11
	v_mul_lo_u32 v8, 0, v10
	v_mul_hi_u32 v9, 24, v10
	v_mul_lo_u32 v12, 24, v10
	s_delay_alu instid0(VALU_DEP_3) | instskip(SKIP_1) | instid1(VALU_DEP_2)
	v_add_nc_u32_e32 v3, v3, v8
	s_wait_loadcnt 0x0
	v_add_co_u32 v8, vcc_lo, v4, v12
	s_delay_alu instid0(VALU_DEP_2) | instskip(SKIP_1) | instid1(VALU_DEP_1)
	v_add_nc_u32_e32 v3, v3, v9
	s_wait_alu 0xfffd
	v_add_co_ci_u32_e64 v9, null, v5, v3, vcc_lo
	s_and_saveexec_b32 s10, s2
	s_cbranch_execz .LBB4_329
; %bb.328:
	s_wait_alu 0xfffe
	v_dual_mov_b32 v12, s3 :: v_dual_mov_b32 v13, v2
	v_dual_mov_b32 v14, 2 :: v_dual_mov_b32 v15, 1
	global_store_b128 v[8:9], v[12:15], off offset:8
.LBB4_329:
	s_wait_alu 0xfffe
	s_or_b32 exec_lo, exec_lo, s10
	v_lshlrev_b64_e32 v[10:11], 12, v[10:11]
	s_mov_b32 s12, 0
	v_and_or_b32 v0, 0xffffff1f, v0, 32
	s_wait_alu 0xfffe
	s_mov_b32 s13, s12
	s_mov_b32 s14, s12
	;; [unrolled: 1-line block ×3, first 2 shown]
	v_add_co_u32 v6, vcc_lo, v6, v10
	s_wait_alu 0xfffd
	v_add_co_ci_u32_e64 v7, null, v7, v11, vcc_lo
	v_dual_mov_b32 v3, v2 :: v_dual_mov_b32 v10, s12
	s_delay_alu instid0(VALU_DEP_3) | instskip(SKIP_1) | instid1(VALU_DEP_4)
	v_readfirstlane_b32 s10, v6
	v_add_co_u32 v6, vcc_lo, v6, v32
	v_readfirstlane_b32 s11, v7
	s_wait_alu 0xfffd
	v_add_co_ci_u32_e64 v7, null, 0, v7, vcc_lo
	s_wait_alu 0xfffe
	v_dual_mov_b32 v11, s13 :: v_dual_mov_b32 v12, s14
	v_mov_b32_e32 v13, s15
	s_clause 0x3
	global_store_b128 v32, v[0:3], s[10:11]
	global_store_b128 v32, v[10:13], s[10:11] offset:16
	global_store_b128 v32, v[10:13], s[10:11] offset:32
	global_store_b128 v32, v[10:13], s[10:11] offset:48
	s_and_saveexec_b32 s3, s2
	s_cbranch_execz .LBB4_337
; %bb.330:
	v_mov_b32_e32 v10, 0
	s_mov_b32 s10, exec_lo
	s_clause 0x1
	global_load_b64 v[13:14], v10, s[6:7] offset:32 scope:SCOPE_SYS
	global_load_b64 v[0:1], v10, s[6:7] offset:40
	v_dual_mov_b32 v11, s8 :: v_dual_mov_b32 v12, s9
	s_wait_loadcnt 0x0
	v_and_b32_e32 v1, s9, v1
	v_and_b32_e32 v0, s8, v0
	s_delay_alu instid0(VALU_DEP_2) | instskip(NEXT) | instid1(VALU_DEP_2)
	v_mul_lo_u32 v1, 24, v1
	v_mul_lo_u32 v2, 0, v0
	v_mul_hi_u32 v3, 24, v0
	v_mul_lo_u32 v0, 24, v0
	s_delay_alu instid0(VALU_DEP_3) | instskip(NEXT) | instid1(VALU_DEP_2)
	v_add_nc_u32_e32 v1, v1, v2
	v_add_co_u32 v4, vcc_lo, v4, v0
	s_delay_alu instid0(VALU_DEP_2) | instskip(SKIP_1) | instid1(VALU_DEP_1)
	v_add_nc_u32_e32 v1, v1, v3
	s_wait_alu 0xfffd
	v_add_co_ci_u32_e64 v5, null, v5, v1, vcc_lo
	global_store_b64 v[4:5], v[13:14], off
	global_wb scope:SCOPE_SYS
	s_wait_storecnt 0x0
	global_atomic_cmpswap_b64 v[2:3], v10, v[11:14], s[6:7] offset:32 th:TH_ATOMIC_RETURN scope:SCOPE_SYS
	s_wait_loadcnt 0x0
	v_cmpx_ne_u64_e64 v[2:3], v[13:14]
	s_cbranch_execz .LBB4_333
; %bb.331:
	s_mov_b32 s11, 0
.LBB4_332:                              ; =>This Inner Loop Header: Depth=1
	v_dual_mov_b32 v0, s8 :: v_dual_mov_b32 v1, s9
	s_sleep 1
	global_store_b64 v[4:5], v[2:3], off
	global_wb scope:SCOPE_SYS
	s_wait_storecnt 0x0
	global_atomic_cmpswap_b64 v[0:1], v10, v[0:3], s[6:7] offset:32 th:TH_ATOMIC_RETURN scope:SCOPE_SYS
	s_wait_loadcnt 0x0
	v_cmp_eq_u64_e32 vcc_lo, v[0:1], v[2:3]
	v_dual_mov_b32 v3, v1 :: v_dual_mov_b32 v2, v0
	s_wait_alu 0xfffe
	s_or_b32 s11, vcc_lo, s11
	s_wait_alu 0xfffe
	s_and_not1_b32 exec_lo, exec_lo, s11
	s_cbranch_execnz .LBB4_332
.LBB4_333:
	s_wait_alu 0xfffe
	s_or_b32 exec_lo, exec_lo, s10
	v_mov_b32_e32 v3, 0
	s_mov_b32 s11, exec_lo
	s_mov_b32 s10, exec_lo
	s_wait_alu 0xfffe
	v_mbcnt_lo_u32_b32 v2, s11, 0
	global_load_b64 v[0:1], v3, s[6:7] offset:16
	v_cmpx_eq_u32_e32 0, v2
	s_cbranch_execz .LBB4_335
; %bb.334:
	s_bcnt1_i32_b32 s11, s11
	s_wait_alu 0xfffe
	v_mov_b32_e32 v2, s11
	global_wb scope:SCOPE_SYS
	s_wait_loadcnt 0x0
	s_wait_storecnt 0x0
	global_atomic_add_u64 v[0:1], v[2:3], off offset:8 scope:SCOPE_SYS
.LBB4_335:
	s_or_b32 exec_lo, exec_lo, s10
	s_wait_loadcnt 0x0
	global_load_b64 v[2:3], v[0:1], off offset:16
	s_wait_loadcnt 0x0
	v_cmp_eq_u64_e32 vcc_lo, 0, v[2:3]
	s_cbranch_vccnz .LBB4_337
; %bb.336:
	global_load_b32 v0, v[0:1], off offset:24
	v_mov_b32_e32 v1, 0
	s_wait_loadcnt 0x0
	v_readfirstlane_b32 s10, v0
	global_wb scope:SCOPE_SYS
	s_wait_storecnt 0x0
	global_store_b64 v[2:3], v[0:1], off scope:SCOPE_SYS
	s_and_b32 m0, s10, 0xffffff
	s_sendmsg sendmsg(MSG_INTERRUPT)
.LBB4_337:
	s_wait_alu 0xfffe
	s_or_b32 exec_lo, exec_lo, s3
	s_branch .LBB4_341
.LBB4_338:                              ;   in Loop: Header=BB4_341 Depth=1
	s_wait_alu 0xfffe
	s_or_b32 exec_lo, exec_lo, s3
	s_delay_alu instid0(VALU_DEP_1)
	v_readfirstlane_b32 s3, v0
	s_cmp_eq_u32 s3, 0
	s_cbranch_scc1 .LBB4_340
; %bb.339:                              ;   in Loop: Header=BB4_341 Depth=1
	s_sleep 1
	s_cbranch_execnz .LBB4_341
	s_branch .LBB4_343
.LBB4_340:
	s_branch .LBB4_343
.LBB4_341:                              ; =>This Inner Loop Header: Depth=1
	v_mov_b32_e32 v0, 1
	s_and_saveexec_b32 s3, s2
	s_cbranch_execz .LBB4_338
; %bb.342:                              ;   in Loop: Header=BB4_341 Depth=1
	global_load_b32 v0, v[8:9], off offset:20 scope:SCOPE_SYS
	s_wait_loadcnt 0x0
	global_inv scope:SCOPE_SYS
	v_and_b32_e32 v0, 1, v0
	s_branch .LBB4_338
.LBB4_343:
	global_load_b64 v[2:3], v[6:7], off
	s_and_saveexec_b32 s10, s2
	s_cbranch_execz .LBB4_347
; %bb.344:
	v_mov_b32_e32 v8, 0
	s_clause 0x2
	global_load_b64 v[0:1], v8, s[6:7] offset:40
	global_load_b64 v[11:12], v8, s[6:7] offset:24 scope:SCOPE_SYS
	global_load_b64 v[4:5], v8, s[6:7]
	s_wait_loadcnt 0x2
	v_readfirstlane_b32 s12, v0
	v_readfirstlane_b32 s13, v1
	s_add_nc_u64 s[2:3], s[12:13], 1
	s_wait_alu 0xfffe
	s_add_nc_u64 s[8:9], s[2:3], s[8:9]
	s_wait_alu 0xfffe
	s_cmp_eq_u64 s[8:9], 0
	s_cselect_b32 s3, s3, s9
	s_cselect_b32 s2, s2, s8
	s_wait_alu 0xfffe
	v_mov_b32_e32 v10, s3
	s_and_b64 s[8:9], s[2:3], s[12:13]
	v_mov_b32_e32 v9, s2
	s_wait_alu 0xfffe
	s_mul_u64 s[8:9], s[8:9], 24
	s_wait_loadcnt 0x0
	s_wait_alu 0xfffe
	v_add_co_u32 v0, vcc_lo, v4, s8
	s_wait_alu 0xfffd
	v_add_co_ci_u32_e64 v1, null, s9, v5, vcc_lo
	global_store_b64 v[0:1], v[11:12], off
	global_wb scope:SCOPE_SYS
	s_wait_storecnt 0x0
	global_atomic_cmpswap_b64 v[6:7], v8, v[9:12], s[6:7] offset:24 th:TH_ATOMIC_RETURN scope:SCOPE_SYS
	s_wait_loadcnt 0x0
	v_cmp_ne_u64_e32 vcc_lo, v[6:7], v[11:12]
	s_and_b32 exec_lo, exec_lo, vcc_lo
	s_cbranch_execz .LBB4_347
; %bb.345:
	s_mov_b32 s8, 0
.LBB4_346:                              ; =>This Inner Loop Header: Depth=1
	v_dual_mov_b32 v4, s2 :: v_dual_mov_b32 v5, s3
	s_sleep 1
	global_store_b64 v[0:1], v[6:7], off
	global_wb scope:SCOPE_SYS
	s_wait_storecnt 0x0
	global_atomic_cmpswap_b64 v[4:5], v8, v[4:7], s[6:7] offset:24 th:TH_ATOMIC_RETURN scope:SCOPE_SYS
	s_wait_loadcnt 0x0
	v_cmp_eq_u64_e32 vcc_lo, v[4:5], v[6:7]
	v_dual_mov_b32 v7, v5 :: v_dual_mov_b32 v6, v4
	s_wait_alu 0xfffe
	s_or_b32 s8, vcc_lo, s8
	s_wait_alu 0xfffe
	s_and_not1_b32 exec_lo, exec_lo, s8
	s_cbranch_execnz .LBB4_346
.LBB4_347:
	s_wait_alu 0xfffe
	s_or_b32 exec_lo, exec_lo, s10
.LBB4_348:
	v_readfirstlane_b32 s2, v33
	s_wait_loadcnt 0x0
	v_mov_b32_e32 v0, 0
	v_mov_b32_e32 v1, 0
	s_wait_alu 0xf1ff
	v_cmp_eq_u32_e64 s2, s2, v33
	s_and_saveexec_b32 s3, s2
	s_cbranch_execz .LBB4_354
; %bb.349:
	v_mov_b32_e32 v4, 0
	s_mov_b32 s8, exec_lo
	global_load_b64 v[7:8], v4, s[6:7] offset:24 scope:SCOPE_SYS
	s_wait_loadcnt 0x0
	global_inv scope:SCOPE_SYS
	s_clause 0x1
	global_load_b64 v[0:1], v4, s[6:7] offset:40
	global_load_b64 v[5:6], v4, s[6:7]
	s_wait_loadcnt 0x1
	v_and_b32_e32 v1, v1, v8
	v_and_b32_e32 v0, v0, v7
	s_delay_alu instid0(VALU_DEP_2) | instskip(NEXT) | instid1(VALU_DEP_2)
	v_mul_lo_u32 v1, 24, v1
	v_mul_lo_u32 v9, 0, v0
	v_mul_hi_u32 v10, 24, v0
	v_mul_lo_u32 v0, 24, v0
	s_delay_alu instid0(VALU_DEP_3) | instskip(SKIP_1) | instid1(VALU_DEP_2)
	v_add_nc_u32_e32 v1, v1, v9
	s_wait_loadcnt 0x0
	v_add_co_u32 v0, vcc_lo, v5, v0
	s_delay_alu instid0(VALU_DEP_2) | instskip(SKIP_1) | instid1(VALU_DEP_1)
	v_add_nc_u32_e32 v1, v1, v10
	s_wait_alu 0xfffd
	v_add_co_ci_u32_e64 v1, null, v6, v1, vcc_lo
	global_load_b64 v[5:6], v[0:1], off scope:SCOPE_SYS
	s_wait_loadcnt 0x0
	global_atomic_cmpswap_b64 v[0:1], v4, v[5:8], s[6:7] offset:24 th:TH_ATOMIC_RETURN scope:SCOPE_SYS
	s_wait_loadcnt 0x0
	global_inv scope:SCOPE_SYS
	v_cmpx_ne_u64_e64 v[0:1], v[7:8]
	s_cbranch_execz .LBB4_353
; %bb.350:
	s_mov_b32 s9, 0
.LBB4_351:                              ; =>This Inner Loop Header: Depth=1
	s_sleep 1
	s_clause 0x1
	global_load_b64 v[5:6], v4, s[6:7] offset:40
	global_load_b64 v[9:10], v4, s[6:7]
	v_dual_mov_b32 v8, v1 :: v_dual_mov_b32 v7, v0
	s_wait_loadcnt 0x1
	s_delay_alu instid0(VALU_DEP_1) | instskip(NEXT) | instid1(VALU_DEP_2)
	v_and_b32_e32 v0, v5, v7
	v_and_b32_e32 v5, v6, v8
	s_wait_loadcnt 0x0
	s_delay_alu instid0(VALU_DEP_2) | instskip(NEXT) | instid1(VALU_DEP_1)
	v_mad_co_u64_u32 v[0:1], null, v0, 24, v[9:10]
	v_mad_co_u64_u32 v[5:6], null, v5, 24, v[1:2]
	s_delay_alu instid0(VALU_DEP_1)
	v_mov_b32_e32 v1, v5
	global_load_b64 v[5:6], v[0:1], off scope:SCOPE_SYS
	s_wait_loadcnt 0x0
	global_atomic_cmpswap_b64 v[0:1], v4, v[5:8], s[6:7] offset:24 th:TH_ATOMIC_RETURN scope:SCOPE_SYS
	s_wait_loadcnt 0x0
	global_inv scope:SCOPE_SYS
	v_cmp_eq_u64_e32 vcc_lo, v[0:1], v[7:8]
	s_wait_alu 0xfffe
	s_or_b32 s9, vcc_lo, s9
	s_wait_alu 0xfffe
	s_and_not1_b32 exec_lo, exec_lo, s9
	s_cbranch_execnz .LBB4_351
; %bb.352:
	s_or_b32 exec_lo, exec_lo, s9
.LBB4_353:
	s_wait_alu 0xfffe
	s_or_b32 exec_lo, exec_lo, s8
.LBB4_354:
	s_wait_alu 0xfffe
	s_or_b32 exec_lo, exec_lo, s3
	v_readfirstlane_b32 s8, v0
	v_mov_b32_e32 v5, 0
	v_readfirstlane_b32 s9, v1
	s_mov_b32 s3, exec_lo
	s_clause 0x1
	global_load_b64 v[10:11], v5, s[6:7] offset:40
	global_load_b128 v[6:9], v5, s[6:7]
	s_wait_loadcnt 0x1
	s_wait_alu 0xf1ff
	v_and_b32_e32 v1, s9, v11
	v_and_b32_e32 v0, s8, v10
	s_delay_alu instid0(VALU_DEP_2) | instskip(NEXT) | instid1(VALU_DEP_2)
	v_mul_lo_u32 v4, 24, v1
	v_mul_lo_u32 v10, 0, v0
	v_mul_hi_u32 v11, 24, v0
	v_mul_lo_u32 v12, 24, v0
	s_delay_alu instid0(VALU_DEP_3) | instskip(SKIP_1) | instid1(VALU_DEP_2)
	v_add_nc_u32_e32 v4, v4, v10
	s_wait_loadcnt 0x0
	v_add_co_u32 v10, vcc_lo, v6, v12
	s_delay_alu instid0(VALU_DEP_2) | instskip(SKIP_1) | instid1(VALU_DEP_1)
	v_add_nc_u32_e32 v4, v4, v11
	s_wait_alu 0xfffd
	v_add_co_ci_u32_e64 v11, null, v7, v4, vcc_lo
	s_and_saveexec_b32 s10, s2
	s_cbranch_execz .LBB4_356
; %bb.355:
	s_wait_alu 0xfffe
	v_dual_mov_b32 v4, s3 :: v_dual_mov_b32 v15, 1
	v_dual_mov_b32 v14, 2 :: v_dual_mov_b32 v13, v5
	s_delay_alu instid0(VALU_DEP_2)
	v_mov_b32_e32 v12, v4
	global_store_b128 v[10:11], v[12:15], off offset:8
.LBB4_356:
	s_wait_alu 0xfffe
	s_or_b32 exec_lo, exec_lo, s10
	v_lshlrev_b64_e32 v[0:1], 12, v[0:1]
	s_mov_b32 s12, 0
	s_lshr_b32 s3, s20, 3
	s_wait_alu 0xfffe
	s_mov_b32 s13, s12
	s_mov_b32 s14, s12
	;; [unrolled: 1-line block ×3, first 2 shown]
	v_add_co_u32 v0, vcc_lo, v8, v0
	s_wait_alu 0xfffd
	v_add_co_ci_u32_e64 v1, null, v9, v1, vcc_lo
	v_and_or_b32 v2, 0xffffff1f, v2, 32
	s_delay_alu instid0(VALU_DEP_3)
	v_add_co_u32 v8, vcc_lo, v0, v32
	v_mov_b32_e32 v4, s3
	v_readfirstlane_b32 s10, v0
	v_readfirstlane_b32 s11, v1
	s_wait_alu 0xfffe
	v_dual_mov_b32 v12, s12 :: v_dual_mov_b32 v15, s15
	s_wait_alu 0xfffd
	v_add_co_ci_u32_e64 v9, null, 0, v1, vcc_lo
	v_dual_mov_b32 v13, s13 :: v_dual_mov_b32 v14, s14
	s_clause 0x3
	global_store_b128 v32, v[2:5], s[10:11]
	global_store_b128 v32, v[12:15], s[10:11] offset:16
	global_store_b128 v32, v[12:15], s[10:11] offset:32
	;; [unrolled: 1-line block ×3, first 2 shown]
	s_and_saveexec_b32 s3, s2
	s_cbranch_execz .LBB4_364
; %bb.357:
	v_mov_b32_e32 v12, 0
	s_mov_b32 s10, exec_lo
	s_clause 0x1
	global_load_b64 v[15:16], v12, s[6:7] offset:32 scope:SCOPE_SYS
	global_load_b64 v[0:1], v12, s[6:7] offset:40
	v_dual_mov_b32 v13, s8 :: v_dual_mov_b32 v14, s9
	s_wait_loadcnt 0x0
	v_and_b32_e32 v1, s9, v1
	v_and_b32_e32 v0, s8, v0
	s_delay_alu instid0(VALU_DEP_2) | instskip(NEXT) | instid1(VALU_DEP_2)
	v_mul_lo_u32 v1, 24, v1
	v_mul_lo_u32 v2, 0, v0
	v_mul_hi_u32 v3, 24, v0
	v_mul_lo_u32 v0, 24, v0
	s_delay_alu instid0(VALU_DEP_3) | instskip(NEXT) | instid1(VALU_DEP_2)
	v_add_nc_u32_e32 v1, v1, v2
	v_add_co_u32 v4, vcc_lo, v6, v0
	s_delay_alu instid0(VALU_DEP_2) | instskip(SKIP_1) | instid1(VALU_DEP_1)
	v_add_nc_u32_e32 v1, v1, v3
	s_wait_alu 0xfffd
	v_add_co_ci_u32_e64 v5, null, v7, v1, vcc_lo
	global_store_b64 v[4:5], v[15:16], off
	global_wb scope:SCOPE_SYS
	s_wait_storecnt 0x0
	global_atomic_cmpswap_b64 v[2:3], v12, v[13:16], s[6:7] offset:32 th:TH_ATOMIC_RETURN scope:SCOPE_SYS
	s_wait_loadcnt 0x0
	v_cmpx_ne_u64_e64 v[2:3], v[15:16]
	s_cbranch_execz .LBB4_360
; %bb.358:
	s_mov_b32 s11, 0
.LBB4_359:                              ; =>This Inner Loop Header: Depth=1
	v_dual_mov_b32 v0, s8 :: v_dual_mov_b32 v1, s9
	s_sleep 1
	global_store_b64 v[4:5], v[2:3], off
	global_wb scope:SCOPE_SYS
	s_wait_storecnt 0x0
	global_atomic_cmpswap_b64 v[0:1], v12, v[0:3], s[6:7] offset:32 th:TH_ATOMIC_RETURN scope:SCOPE_SYS
	s_wait_loadcnt 0x0
	v_cmp_eq_u64_e32 vcc_lo, v[0:1], v[2:3]
	v_dual_mov_b32 v3, v1 :: v_dual_mov_b32 v2, v0
	s_wait_alu 0xfffe
	s_or_b32 s11, vcc_lo, s11
	s_wait_alu 0xfffe
	s_and_not1_b32 exec_lo, exec_lo, s11
	s_cbranch_execnz .LBB4_359
.LBB4_360:
	s_wait_alu 0xfffe
	s_or_b32 exec_lo, exec_lo, s10
	v_mov_b32_e32 v3, 0
	s_mov_b32 s11, exec_lo
	s_mov_b32 s10, exec_lo
	s_wait_alu 0xfffe
	v_mbcnt_lo_u32_b32 v2, s11, 0
	global_load_b64 v[0:1], v3, s[6:7] offset:16
	v_cmpx_eq_u32_e32 0, v2
	s_cbranch_execz .LBB4_362
; %bb.361:
	s_bcnt1_i32_b32 s11, s11
	s_wait_alu 0xfffe
	v_mov_b32_e32 v2, s11
	global_wb scope:SCOPE_SYS
	s_wait_loadcnt 0x0
	s_wait_storecnt 0x0
	global_atomic_add_u64 v[0:1], v[2:3], off offset:8 scope:SCOPE_SYS
.LBB4_362:
	s_or_b32 exec_lo, exec_lo, s10
	s_wait_loadcnt 0x0
	global_load_b64 v[2:3], v[0:1], off offset:16
	s_wait_loadcnt 0x0
	v_cmp_eq_u64_e32 vcc_lo, 0, v[2:3]
	s_cbranch_vccnz .LBB4_364
; %bb.363:
	global_load_b32 v0, v[0:1], off offset:24
	v_mov_b32_e32 v1, 0
	s_wait_loadcnt 0x0
	v_readfirstlane_b32 s10, v0
	global_wb scope:SCOPE_SYS
	s_wait_storecnt 0x0
	global_store_b64 v[2:3], v[0:1], off scope:SCOPE_SYS
	s_and_b32 m0, s10, 0xffffff
	s_sendmsg sendmsg(MSG_INTERRUPT)
.LBB4_364:
	s_wait_alu 0xfffe
	s_or_b32 exec_lo, exec_lo, s3
	s_branch .LBB4_368
.LBB4_365:                              ;   in Loop: Header=BB4_368 Depth=1
	s_wait_alu 0xfffe
	s_or_b32 exec_lo, exec_lo, s3
	s_delay_alu instid0(VALU_DEP_1)
	v_readfirstlane_b32 s3, v0
	s_cmp_eq_u32 s3, 0
	s_cbranch_scc1 .LBB4_367
; %bb.366:                              ;   in Loop: Header=BB4_368 Depth=1
	s_sleep 1
	s_cbranch_execnz .LBB4_368
	s_branch .LBB4_370
.LBB4_367:
	s_branch .LBB4_370
.LBB4_368:                              ; =>This Inner Loop Header: Depth=1
	v_mov_b32_e32 v0, 1
	s_and_saveexec_b32 s3, s2
	s_cbranch_execz .LBB4_365
; %bb.369:                              ;   in Loop: Header=BB4_368 Depth=1
	global_load_b32 v0, v[10:11], off offset:20 scope:SCOPE_SYS
	s_wait_loadcnt 0x0
	global_inv scope:SCOPE_SYS
	v_and_b32_e32 v0, 1, v0
	s_branch .LBB4_365
.LBB4_370:
	global_load_b64 v[0:1], v[8:9], off
	s_and_saveexec_b32 s10, s2
	s_cbranch_execz .LBB4_374
; %bb.371:
	v_mov_b32_e32 v8, 0
	s_clause 0x2
	global_load_b64 v[2:3], v8, s[6:7] offset:40
	global_load_b64 v[11:12], v8, s[6:7] offset:24 scope:SCOPE_SYS
	global_load_b64 v[4:5], v8, s[6:7]
	s_wait_loadcnt 0x2
	v_readfirstlane_b32 s12, v2
	v_readfirstlane_b32 s13, v3
	s_add_nc_u64 s[2:3], s[12:13], 1
	s_wait_alu 0xfffe
	s_add_nc_u64 s[8:9], s[2:3], s[8:9]
	s_wait_alu 0xfffe
	s_cmp_eq_u64 s[8:9], 0
	s_cselect_b32 s3, s3, s9
	s_cselect_b32 s2, s2, s8
	s_wait_alu 0xfffe
	v_mov_b32_e32 v10, s3
	s_and_b64 s[8:9], s[2:3], s[12:13]
	v_mov_b32_e32 v9, s2
	s_wait_alu 0xfffe
	s_mul_u64 s[8:9], s[8:9], 24
	s_wait_loadcnt 0x0
	s_wait_alu 0xfffe
	v_add_co_u32 v6, vcc_lo, v4, s8
	s_wait_alu 0xfffd
	v_add_co_ci_u32_e64 v7, null, s9, v5, vcc_lo
	global_store_b64 v[6:7], v[11:12], off
	global_wb scope:SCOPE_SYS
	s_wait_storecnt 0x0
	global_atomic_cmpswap_b64 v[4:5], v8, v[9:12], s[6:7] offset:24 th:TH_ATOMIC_RETURN scope:SCOPE_SYS
	s_wait_loadcnt 0x0
	v_cmp_ne_u64_e32 vcc_lo, v[4:5], v[11:12]
	s_and_b32 exec_lo, exec_lo, vcc_lo
	s_cbranch_execz .LBB4_374
; %bb.372:
	s_mov_b32 s8, 0
.LBB4_373:                              ; =>This Inner Loop Header: Depth=1
	v_dual_mov_b32 v2, s2 :: v_dual_mov_b32 v3, s3
	s_sleep 1
	global_store_b64 v[6:7], v[4:5], off
	global_wb scope:SCOPE_SYS
	s_wait_storecnt 0x0
	global_atomic_cmpswap_b64 v[2:3], v8, v[2:5], s[6:7] offset:24 th:TH_ATOMIC_RETURN scope:SCOPE_SYS
	s_wait_loadcnt 0x0
	v_cmp_eq_u64_e32 vcc_lo, v[2:3], v[4:5]
	v_dual_mov_b32 v5, v3 :: v_dual_mov_b32 v4, v2
	s_wait_alu 0xfffe
	s_or_b32 s8, vcc_lo, s8
	s_wait_alu 0xfffe
	s_and_not1_b32 exec_lo, exec_lo, s8
	s_cbranch_execnz .LBB4_373
.LBB4_374:
	s_wait_alu 0xfffe
	s_or_b32 exec_lo, exec_lo, s10
	v_readfirstlane_b32 s2, v33
	v_mov_b32_e32 v8, 0
	v_mov_b32_e32 v9, 0
	s_wait_alu 0xf1ff
	s_delay_alu instid0(VALU_DEP_3)
	v_cmp_eq_u32_e64 s2, s2, v33
	s_and_saveexec_b32 s3, s2
	s_cbranch_execz .LBB4_380
; %bb.375:
	v_mov_b32_e32 v2, 0
	s_mov_b32 s8, exec_lo
	global_load_b64 v[5:6], v2, s[6:7] offset:24 scope:SCOPE_SYS
	s_wait_loadcnt 0x0
	global_inv scope:SCOPE_SYS
	s_clause 0x1
	global_load_b64 v[3:4], v2, s[6:7] offset:40
	global_load_b64 v[7:8], v2, s[6:7]
	s_wait_loadcnt 0x1
	v_and_b32_e32 v4, v4, v6
	v_and_b32_e32 v3, v3, v5
	s_delay_alu instid0(VALU_DEP_2) | instskip(NEXT) | instid1(VALU_DEP_2)
	v_mul_lo_u32 v4, 24, v4
	v_mul_lo_u32 v9, 0, v3
	v_mul_hi_u32 v10, 24, v3
	v_mul_lo_u32 v3, 24, v3
	s_delay_alu instid0(VALU_DEP_3) | instskip(SKIP_1) | instid1(VALU_DEP_2)
	v_add_nc_u32_e32 v4, v4, v9
	s_wait_loadcnt 0x0
	v_add_co_u32 v3, vcc_lo, v7, v3
	s_delay_alu instid0(VALU_DEP_2) | instskip(SKIP_1) | instid1(VALU_DEP_1)
	v_add_nc_u32_e32 v4, v4, v10
	s_wait_alu 0xfffd
	v_add_co_ci_u32_e64 v4, null, v8, v4, vcc_lo
	global_load_b64 v[3:4], v[3:4], off scope:SCOPE_SYS
	s_wait_loadcnt 0x0
	global_atomic_cmpswap_b64 v[8:9], v2, v[3:6], s[6:7] offset:24 th:TH_ATOMIC_RETURN scope:SCOPE_SYS
	s_wait_loadcnt 0x0
	global_inv scope:SCOPE_SYS
	v_cmpx_ne_u64_e64 v[8:9], v[5:6]
	s_cbranch_execz .LBB4_379
; %bb.376:
	s_mov_b32 s9, 0
.LBB4_377:                              ; =>This Inner Loop Header: Depth=1
	s_sleep 1
	s_clause 0x1
	global_load_b64 v[3:4], v2, s[6:7] offset:40
	global_load_b64 v[10:11], v2, s[6:7]
	v_dual_mov_b32 v5, v8 :: v_dual_mov_b32 v6, v9
	s_wait_loadcnt 0x1
	s_delay_alu instid0(VALU_DEP_1) | instskip(NEXT) | instid1(VALU_DEP_2)
	v_and_b32_e32 v3, v3, v5
	v_and_b32_e32 v4, v4, v6
	s_wait_loadcnt 0x0
	s_delay_alu instid0(VALU_DEP_2) | instskip(NEXT) | instid1(VALU_DEP_1)
	v_mad_co_u64_u32 v[7:8], null, v3, 24, v[10:11]
	v_mov_b32_e32 v3, v8
	s_delay_alu instid0(VALU_DEP_1) | instskip(NEXT) | instid1(VALU_DEP_1)
	v_mad_co_u64_u32 v[3:4], null, v4, 24, v[3:4]
	v_mov_b32_e32 v8, v3
	global_load_b64 v[3:4], v[7:8], off scope:SCOPE_SYS
	s_wait_loadcnt 0x0
	global_atomic_cmpswap_b64 v[8:9], v2, v[3:6], s[6:7] offset:24 th:TH_ATOMIC_RETURN scope:SCOPE_SYS
	s_wait_loadcnt 0x0
	global_inv scope:SCOPE_SYS
	v_cmp_eq_u64_e32 vcc_lo, v[8:9], v[5:6]
	s_wait_alu 0xfffe
	s_or_b32 s9, vcc_lo, s9
	s_wait_alu 0xfffe
	s_and_not1_b32 exec_lo, exec_lo, s9
	s_cbranch_execnz .LBB4_377
; %bb.378:
	s_or_b32 exec_lo, exec_lo, s9
.LBB4_379:
	s_wait_alu 0xfffe
	s_or_b32 exec_lo, exec_lo, s8
.LBB4_380:
	s_wait_alu 0xfffe
	s_or_b32 exec_lo, exec_lo, s3
	v_readfirstlane_b32 s8, v8
	v_mov_b32_e32 v3, 0
	v_readfirstlane_b32 s9, v9
	s_mov_b32 s3, exec_lo
	s_clause 0x1
	global_load_b64 v[10:11], v3, s[6:7] offset:40
	global_load_b128 v[4:7], v3, s[6:7]
	s_wait_loadcnt 0x1
	s_wait_alu 0xf1ff
	v_and_b32_e32 v11, s9, v11
	v_and_b32_e32 v10, s8, v10
	s_delay_alu instid0(VALU_DEP_2) | instskip(NEXT) | instid1(VALU_DEP_2)
	v_mul_lo_u32 v2, 24, v11
	v_mul_lo_u32 v8, 0, v10
	v_mul_hi_u32 v9, 24, v10
	v_mul_lo_u32 v12, 24, v10
	s_delay_alu instid0(VALU_DEP_3) | instskip(SKIP_1) | instid1(VALU_DEP_2)
	v_add_nc_u32_e32 v2, v2, v8
	s_wait_loadcnt 0x0
	v_add_co_u32 v8, vcc_lo, v4, v12
	s_delay_alu instid0(VALU_DEP_2) | instskip(SKIP_1) | instid1(VALU_DEP_1)
	v_add_nc_u32_e32 v2, v2, v9
	s_wait_alu 0xfffd
	v_add_co_ci_u32_e64 v9, null, v5, v2, vcc_lo
	s_and_saveexec_b32 s10, s2
	s_cbranch_execz .LBB4_382
; %bb.381:
	s_wait_alu 0xfffe
	v_dual_mov_b32 v2, s3 :: v_dual_mov_b32 v15, 1
	v_dual_mov_b32 v14, 2 :: v_dual_mov_b32 v13, v3
	s_delay_alu instid0(VALU_DEP_2)
	v_mov_b32_e32 v12, v2
	global_store_b128 v[8:9], v[12:15], off offset:8
.LBB4_382:
	s_wait_alu 0xfffe
	s_or_b32 exec_lo, exec_lo, s10
	v_lshlrev_b64_e32 v[10:11], 12, v[10:11]
	s_mov_b32 s12, 0
	v_and_or_b32 v0, 0xffffff1d, v0, 34
	s_wait_alu 0xfffe
	s_mov_b32 s13, s12
	s_mov_b32 s14, s12
	;; [unrolled: 1-line block ×3, first 2 shown]
	v_add_co_u32 v6, vcc_lo, v6, v10
	s_wait_alu 0xfffd
	v_add_co_ci_u32_e64 v7, null, v7, v11, vcc_lo
	v_mov_b32_e32 v2, 8
	s_delay_alu instid0(VALU_DEP_3)
	v_readfirstlane_b32 s10, v6
	s_wait_alu 0xfffe
	v_dual_mov_b32 v10, s12 :: v_dual_mov_b32 v13, s15
	v_readfirstlane_b32 s11, v7
	v_dual_mov_b32 v11, s13 :: v_dual_mov_b32 v12, s14
	s_clause 0x3
	global_store_b128 v32, v[0:3], s[10:11]
	global_store_b128 v32, v[10:13], s[10:11] offset:16
	global_store_b128 v32, v[10:13], s[10:11] offset:32
	;; [unrolled: 1-line block ×3, first 2 shown]
	s_and_saveexec_b32 s3, s2
	s_cbranch_execz .LBB4_390
; %bb.383:
	v_mov_b32_e32 v6, 0
	s_mov_b32 s10, exec_lo
	s_clause 0x1
	global_load_b64 v[12:13], v6, s[6:7] offset:32 scope:SCOPE_SYS
	global_load_b64 v[0:1], v6, s[6:7] offset:40
	v_dual_mov_b32 v11, s9 :: v_dual_mov_b32 v10, s8
	s_wait_loadcnt 0x0
	v_and_b32_e32 v1, s9, v1
	v_and_b32_e32 v0, s8, v0
	s_delay_alu instid0(VALU_DEP_2) | instskip(NEXT) | instid1(VALU_DEP_2)
	v_mul_lo_u32 v1, 24, v1
	v_mul_lo_u32 v2, 0, v0
	v_mul_hi_u32 v3, 24, v0
	v_mul_lo_u32 v0, 24, v0
	s_delay_alu instid0(VALU_DEP_3) | instskip(NEXT) | instid1(VALU_DEP_2)
	v_add_nc_u32_e32 v1, v1, v2
	v_add_co_u32 v4, vcc_lo, v4, v0
	s_delay_alu instid0(VALU_DEP_2) | instskip(SKIP_1) | instid1(VALU_DEP_1)
	v_add_nc_u32_e32 v1, v1, v3
	s_wait_alu 0xfffd
	v_add_co_ci_u32_e64 v5, null, v5, v1, vcc_lo
	global_store_b64 v[4:5], v[12:13], off
	global_wb scope:SCOPE_SYS
	s_wait_storecnt 0x0
	global_atomic_cmpswap_b64 v[2:3], v6, v[10:13], s[6:7] offset:32 th:TH_ATOMIC_RETURN scope:SCOPE_SYS
	s_wait_loadcnt 0x0
	v_cmpx_ne_u64_e64 v[2:3], v[12:13]
	s_cbranch_execz .LBB4_386
; %bb.384:
	s_mov_b32 s11, 0
.LBB4_385:                              ; =>This Inner Loop Header: Depth=1
	v_dual_mov_b32 v0, s8 :: v_dual_mov_b32 v1, s9
	s_sleep 1
	global_store_b64 v[4:5], v[2:3], off
	global_wb scope:SCOPE_SYS
	s_wait_storecnt 0x0
	global_atomic_cmpswap_b64 v[0:1], v6, v[0:3], s[6:7] offset:32 th:TH_ATOMIC_RETURN scope:SCOPE_SYS
	s_wait_loadcnt 0x0
	v_cmp_eq_u64_e32 vcc_lo, v[0:1], v[2:3]
	v_dual_mov_b32 v3, v1 :: v_dual_mov_b32 v2, v0
	s_wait_alu 0xfffe
	s_or_b32 s11, vcc_lo, s11
	s_wait_alu 0xfffe
	s_and_not1_b32 exec_lo, exec_lo, s11
	s_cbranch_execnz .LBB4_385
.LBB4_386:
	s_wait_alu 0xfffe
	s_or_b32 exec_lo, exec_lo, s10
	v_mov_b32_e32 v3, 0
	s_mov_b32 s11, exec_lo
	s_mov_b32 s10, exec_lo
	s_wait_alu 0xfffe
	v_mbcnt_lo_u32_b32 v2, s11, 0
	global_load_b64 v[0:1], v3, s[6:7] offset:16
	v_cmpx_eq_u32_e32 0, v2
	s_cbranch_execz .LBB4_388
; %bb.387:
	s_bcnt1_i32_b32 s11, s11
	s_wait_alu 0xfffe
	v_mov_b32_e32 v2, s11
	global_wb scope:SCOPE_SYS
	s_wait_loadcnt 0x0
	s_wait_storecnt 0x0
	global_atomic_add_u64 v[0:1], v[2:3], off offset:8 scope:SCOPE_SYS
.LBB4_388:
	s_or_b32 exec_lo, exec_lo, s10
	s_wait_loadcnt 0x0
	global_load_b64 v[2:3], v[0:1], off offset:16
	s_wait_loadcnt 0x0
	v_cmp_eq_u64_e32 vcc_lo, 0, v[2:3]
	s_cbranch_vccnz .LBB4_390
; %bb.389:
	global_load_b32 v0, v[0:1], off offset:24
	v_mov_b32_e32 v1, 0
	s_wait_loadcnt 0x0
	v_readfirstlane_b32 s10, v0
	global_wb scope:SCOPE_SYS
	s_wait_storecnt 0x0
	global_store_b64 v[2:3], v[0:1], off scope:SCOPE_SYS
	s_and_b32 m0, s10, 0xffffff
	s_sendmsg sendmsg(MSG_INTERRUPT)
.LBB4_390:
	s_wait_alu 0xfffe
	s_or_b32 exec_lo, exec_lo, s3
	s_branch .LBB4_394
.LBB4_391:                              ;   in Loop: Header=BB4_394 Depth=1
	s_wait_alu 0xfffe
	s_or_b32 exec_lo, exec_lo, s3
	s_delay_alu instid0(VALU_DEP_1)
	v_readfirstlane_b32 s3, v0
	s_cmp_eq_u32 s3, 0
	s_cbranch_scc1 .LBB4_393
; %bb.392:                              ;   in Loop: Header=BB4_394 Depth=1
	s_sleep 1
	s_cbranch_execnz .LBB4_394
	s_branch .LBB4_396
.LBB4_393:
	s_branch .LBB4_396
.LBB4_394:                              ; =>This Inner Loop Header: Depth=1
	v_mov_b32_e32 v0, 1
	s_and_saveexec_b32 s3, s2
	s_cbranch_execz .LBB4_391
; %bb.395:                              ;   in Loop: Header=BB4_394 Depth=1
	global_load_b32 v0, v[8:9], off offset:20 scope:SCOPE_SYS
	s_wait_loadcnt 0x0
	global_inv scope:SCOPE_SYS
	v_and_b32_e32 v0, 1, v0
	s_branch .LBB4_391
.LBB4_396:
	s_and_b32 exec_lo, exec_lo, s2
	s_cbranch_execz .LBB4_400
; %bb.397:
	v_mov_b32_e32 v6, 0
	s_clause 0x2
	global_load_b64 v[0:1], v6, s[6:7] offset:40
	global_load_b64 v[9:10], v6, s[6:7] offset:24 scope:SCOPE_SYS
	global_load_b64 v[2:3], v6, s[6:7]
	s_wait_loadcnt 0x2
	v_readfirstlane_b32 s10, v0
	v_readfirstlane_b32 s11, v1
	s_add_nc_u64 s[2:3], s[10:11], 1
	s_wait_alu 0xfffe
	s_add_nc_u64 s[8:9], s[2:3], s[8:9]
	s_wait_alu 0xfffe
	s_cmp_eq_u64 s[8:9], 0
	s_cselect_b32 s3, s3, s9
	s_cselect_b32 s2, s2, s8
	s_wait_alu 0xfffe
	v_mov_b32_e32 v8, s3
	s_and_b64 s[8:9], s[2:3], s[10:11]
	v_mov_b32_e32 v7, s2
	s_wait_alu 0xfffe
	s_mul_u64 s[8:9], s[8:9], 24
	s_wait_loadcnt 0x0
	s_wait_alu 0xfffe
	v_add_co_u32 v4, vcc_lo, v2, s8
	s_wait_alu 0xfffd
	v_add_co_ci_u32_e64 v5, null, s9, v3, vcc_lo
	global_store_b64 v[4:5], v[9:10], off
	global_wb scope:SCOPE_SYS
	s_wait_storecnt 0x0
	global_atomic_cmpswap_b64 v[2:3], v6, v[7:10], s[6:7] offset:24 th:TH_ATOMIC_RETURN scope:SCOPE_SYS
	s_wait_loadcnt 0x0
	v_cmp_ne_u64_e32 vcc_lo, v[2:3], v[9:10]
	s_and_b32 exec_lo, exec_lo, vcc_lo
	s_cbranch_execz .LBB4_400
; %bb.398:
	s_mov_b32 s8, 0
.LBB4_399:                              ; =>This Inner Loop Header: Depth=1
	v_dual_mov_b32 v0, s2 :: v_dual_mov_b32 v1, s3
	s_sleep 1
	global_store_b64 v[4:5], v[2:3], off
	global_wb scope:SCOPE_SYS
	s_wait_storecnt 0x0
	global_atomic_cmpswap_b64 v[0:1], v6, v[0:3], s[6:7] offset:24 th:TH_ATOMIC_RETURN scope:SCOPE_SYS
	s_wait_loadcnt 0x0
	v_cmp_eq_u64_e32 vcc_lo, v[0:1], v[2:3]
	v_dual_mov_b32 v3, v1 :: v_dual_mov_b32 v2, v0
	s_wait_alu 0xfffe
	s_or_b32 s8, vcc_lo, s8
	s_wait_alu 0xfffe
	s_and_not1_b32 exec_lo, exec_lo, s8
	s_cbranch_execnz .LBB4_399
.LBB4_400:
	s_wait_alu 0xfffe
	s_or_b32 exec_lo, exec_lo, s23
	v_and_b32_e32 v0, -8, v26
	v_and_b32_e32 v4, 7, v26
	s_mov_b32 s2, exec_lo
	s_wait_loadcnt 0x0
	s_wait_storecnt 0x0
	s_barrier_signal -1
	v_ashrrev_i32_e32 v1, 31, v0
	v_lshlrev_b32_e32 v2, 2, v4
	s_barrier_wait -1
	global_inv scope:SCOPE_SE
	v_lshlrev_b64_e32 v[0:1], 2, v[0:1]
	s_delay_alu instid0(VALU_DEP_1) | instskip(SKIP_1) | instid1(VALU_DEP_2)
	v_add_co_u32 v0, vcc_lo, s22, v0
	s_wait_alu 0xfffd
	v_add_co_ci_u32_e64 v1, null, s21, v1, vcc_lo
	s_delay_alu instid0(VALU_DEP_2) | instskip(SKIP_1) | instid1(VALU_DEP_2)
	v_add_co_u32 v2, vcc_lo, v0, v2
	s_wait_alu 0xfffd
	v_add_co_ci_u32_e64 v3, null, 0, v1, vcc_lo
	flat_store_b32 v[2:3], v26
	s_wait_storecnt 0x0
	s_wait_loadcnt_dscnt 0x0
	global_inv scope:SCOPE_DEV
	v_cmpx_gt_u32_e32 4, v4
	s_cbranch_execz .LBB4_402
; %bb.401:
	flat_load_b32 v5, v[2:3] offset:16
	s_wait_loadcnt_dscnt 0x0
	v_add_nc_u32_e32 v31, v5, v26
.LBB4_402:
	s_wait_alu 0xfffe
	s_or_b32 exec_lo, exec_lo, s2
	s_delay_alu instid0(SALU_CYCLE_1)
	s_mov_b32 s2, exec_lo
	s_wait_loadcnt 0x0
	global_inv scope:SCOPE_DEV
	flat_store_b32 v[2:3], v31
	s_wait_storecnt 0x0
	s_wait_loadcnt_dscnt 0x0
	global_inv scope:SCOPE_DEV
	v_cmpx_gt_u32_e32 2, v4
	s_cbranch_execz .LBB4_404
; %bb.403:
	flat_load_b32 v5, v[2:3] offset:8
	s_wait_loadcnt_dscnt 0x0
	v_add_nc_u32_e32 v31, v5, v31
.LBB4_404:
	s_wait_alu 0xfffe
	s_or_b32 exec_lo, exec_lo, s2
	v_cmp_eq_u32_e64 s2, 0, v4
	s_wait_loadcnt 0x0
	global_inv scope:SCOPE_DEV
	flat_store_b32 v[2:3], v31
	s_wait_storecnt 0x0
	s_wait_loadcnt_dscnt 0x0
	global_inv scope:SCOPE_DEV
	s_and_saveexec_b32 s3, s2
	s_cbranch_execnz .LBB4_407
; %bb.405:
	s_wait_alu 0xfffe
	s_or_b32 exec_lo, exec_lo, s3
	s_wait_loadcnt 0x0
	global_inv scope:SCOPE_DEV
	s_and_saveexec_b32 s3, s2
	s_cbranch_execnz .LBB4_408
.LBB4_406:
	s_endpgm
.LBB4_407:
	flat_load_b32 v0, v[0:1] offset:4
	s_wait_loadcnt_dscnt 0x0
	v_add_nc_u32_e32 v31, v0, v31
	s_wait_alu 0xfffe
	s_or_b32 exec_lo, exec_lo, s3
	global_inv scope:SCOPE_DEV
	s_and_saveexec_b32 s3, s2
	s_cbranch_execz .LBB4_406
.LBB4_408:
	s_load_b64 s[4:5], s[4:5], 0x50
	v_mbcnt_lo_u32_b32 v33, -1, 0
	v_mov_b32_e32 v6, 0
	v_mov_b32_e32 v7, 0
	s_delay_alu instid0(VALU_DEP_3) | instskip(SKIP_1) | instid1(VALU_DEP_1)
	v_readfirstlane_b32 s3, v33
	s_wait_alu 0xf1ff
	v_cmp_eq_u32_e64 s3, s3, v33
	s_and_saveexec_b32 s6, s3
	s_cbranch_execz .LBB4_414
; %bb.409:
	v_mov_b32_e32 v0, 0
	s_mov_b32 s7, exec_lo
	s_wait_kmcnt 0x0
	global_load_b64 v[3:4], v0, s[4:5] offset:24 scope:SCOPE_SYS
	s_wait_loadcnt 0x0
	global_inv scope:SCOPE_SYS
	s_clause 0x1
	global_load_b64 v[1:2], v0, s[4:5] offset:40
	global_load_b64 v[5:6], v0, s[4:5]
	s_wait_loadcnt 0x1
	v_and_b32_e32 v2, v2, v4
	v_and_b32_e32 v1, v1, v3
	s_delay_alu instid0(VALU_DEP_2) | instskip(NEXT) | instid1(VALU_DEP_2)
	v_mul_lo_u32 v2, 24, v2
	v_mul_lo_u32 v7, 0, v1
	v_mul_hi_u32 v8, 24, v1
	v_mul_lo_u32 v1, 24, v1
	s_delay_alu instid0(VALU_DEP_3) | instskip(SKIP_1) | instid1(VALU_DEP_2)
	v_add_nc_u32_e32 v2, v2, v7
	s_wait_loadcnt 0x0
	v_add_co_u32 v1, vcc_lo, v5, v1
	s_delay_alu instid0(VALU_DEP_2) | instskip(SKIP_1) | instid1(VALU_DEP_1)
	v_add_nc_u32_e32 v2, v2, v8
	s_wait_alu 0xfffd
	v_add_co_ci_u32_e64 v2, null, v6, v2, vcc_lo
	global_load_b64 v[1:2], v[1:2], off scope:SCOPE_SYS
	s_wait_loadcnt 0x0
	global_atomic_cmpswap_b64 v[6:7], v0, v[1:4], s[4:5] offset:24 th:TH_ATOMIC_RETURN scope:SCOPE_SYS
	s_wait_loadcnt 0x0
	global_inv scope:SCOPE_SYS
	v_cmpx_ne_u64_e64 v[6:7], v[3:4]
	s_cbranch_execz .LBB4_413
; %bb.410:
	s_mov_b32 s8, 0
.LBB4_411:                              ; =>This Inner Loop Header: Depth=1
	s_sleep 1
	s_clause 0x1
	global_load_b64 v[1:2], v0, s[4:5] offset:40
	global_load_b64 v[8:9], v0, s[4:5]
	v_dual_mov_b32 v3, v6 :: v_dual_mov_b32 v4, v7
	s_wait_loadcnt 0x1
	s_delay_alu instid0(VALU_DEP_1) | instskip(NEXT) | instid1(VALU_DEP_2)
	v_and_b32_e32 v1, v1, v3
	v_and_b32_e32 v2, v2, v4
	s_wait_loadcnt 0x0
	s_delay_alu instid0(VALU_DEP_2) | instskip(NEXT) | instid1(VALU_DEP_1)
	v_mad_co_u64_u32 v[5:6], null, v1, 24, v[8:9]
	v_mov_b32_e32 v1, v6
	s_delay_alu instid0(VALU_DEP_1) | instskip(NEXT) | instid1(VALU_DEP_1)
	v_mad_co_u64_u32 v[1:2], null, v2, 24, v[1:2]
	v_mov_b32_e32 v6, v1
	global_load_b64 v[1:2], v[5:6], off scope:SCOPE_SYS
	s_wait_loadcnt 0x0
	global_atomic_cmpswap_b64 v[6:7], v0, v[1:4], s[4:5] offset:24 th:TH_ATOMIC_RETURN scope:SCOPE_SYS
	s_wait_loadcnt 0x0
	global_inv scope:SCOPE_SYS
	v_cmp_eq_u64_e32 vcc_lo, v[6:7], v[3:4]
	s_wait_alu 0xfffe
	s_or_b32 s8, vcc_lo, s8
	s_wait_alu 0xfffe
	s_and_not1_b32 exec_lo, exec_lo, s8
	s_cbranch_execnz .LBB4_411
; %bb.412:
	s_or_b32 exec_lo, exec_lo, s8
.LBB4_413:
	s_wait_alu 0xfffe
	s_or_b32 exec_lo, exec_lo, s7
.LBB4_414:
	s_wait_alu 0xfffe
	s_or_b32 exec_lo, exec_lo, s6
	v_readfirstlane_b32 s6, v6
	v_mov_b32_e32 v5, 0
	v_readfirstlane_b32 s7, v7
	s_mov_b32 s8, exec_lo
	s_wait_kmcnt 0x0
	s_clause 0x1
	global_load_b64 v[8:9], v5, s[4:5] offset:40
	global_load_b128 v[0:3], v5, s[4:5]
	s_wait_loadcnt 0x1
	s_wait_alu 0xf1ff
	v_and_b32_e32 v11, s7, v9
	v_and_b32_e32 v10, s6, v8
	s_delay_alu instid0(VALU_DEP_2) | instskip(NEXT) | instid1(VALU_DEP_2)
	v_mul_lo_u32 v4, 24, v11
	v_mul_lo_u32 v6, 0, v10
	v_mul_hi_u32 v7, 24, v10
	v_mul_lo_u32 v8, 24, v10
	s_delay_alu instid0(VALU_DEP_3) | instskip(SKIP_1) | instid1(VALU_DEP_2)
	v_add_nc_u32_e32 v4, v4, v6
	s_wait_loadcnt 0x0
	v_add_co_u32 v8, vcc_lo, v0, v8
	s_delay_alu instid0(VALU_DEP_2) | instskip(SKIP_1) | instid1(VALU_DEP_1)
	v_add_nc_u32_e32 v4, v4, v7
	s_wait_alu 0xfffd
	v_add_co_ci_u32_e64 v9, null, v1, v4, vcc_lo
	s_and_saveexec_b32 s9, s3
	s_cbranch_execz .LBB4_416
; %bb.415:
	s_wait_alu 0xfffe
	v_dual_mov_b32 v4, s8 :: v_dual_mov_b32 v7, 1
	v_mov_b32_e32 v6, 2
	global_store_b128 v[8:9], v[4:7], off offset:8
.LBB4_416:
	s_wait_alu 0xfffe
	s_or_b32 exec_lo, exec_lo, s9
	v_lshlrev_b64_e32 v[10:11], 12, v[10:11]
	v_dual_mov_b32 v7, v5 :: v_dual_lshlrev_b32 v32, 6, v33
	s_mov_b32 s8, 0
	s_wait_alu 0xfffe
	s_mov_b32 s11, s8
	s_delay_alu instid0(VALU_DEP_2)
	v_add_co_u32 v2, vcc_lo, v2, v10
	s_wait_alu 0xfffd
	v_add_co_ci_u32_e64 v3, null, v3, v11, vcc_lo
	s_mov_b32 s9, s8
	v_add_co_u32 v10, vcc_lo, v2, v32
	s_mov_b32 s10, s8
	s_wait_alu 0xfffe
	v_dual_mov_b32 v4, 33 :: v_dual_mov_b32 v15, s11
	v_dual_mov_b32 v6, v5 :: v_dual_mov_b32 v13, s9
	v_readfirstlane_b32 s12, v2
	v_readfirstlane_b32 s13, v3
	s_wait_alu 0xfffd
	v_add_co_ci_u32_e64 v11, null, 0, v3, vcc_lo
	v_mov_b32_e32 v14, s10
	v_mov_b32_e32 v12, s8
	s_clause 0x3
	global_store_b128 v32, v[4:7], s[12:13]
	global_store_b128 v32, v[12:15], s[12:13] offset:16
	global_store_b128 v32, v[12:15], s[12:13] offset:32
	;; [unrolled: 1-line block ×3, first 2 shown]
	s_and_saveexec_b32 s8, s3
	s_cbranch_execz .LBB4_424
; %bb.417:
	v_mov_b32_e32 v6, 0
	s_mov_b32 s9, exec_lo
	s_clause 0x1
	global_load_b64 v[14:15], v6, s[4:5] offset:32 scope:SCOPE_SYS
	global_load_b64 v[2:3], v6, s[4:5] offset:40
	v_dual_mov_b32 v13, s7 :: v_dual_mov_b32 v12, s6
	s_wait_loadcnt 0x0
	v_and_b32_e32 v3, s7, v3
	v_and_b32_e32 v2, s6, v2
	s_delay_alu instid0(VALU_DEP_2) | instskip(NEXT) | instid1(VALU_DEP_2)
	v_mul_lo_u32 v3, 24, v3
	v_mul_lo_u32 v4, 0, v2
	v_mul_hi_u32 v5, 24, v2
	v_mul_lo_u32 v2, 24, v2
	s_delay_alu instid0(VALU_DEP_3) | instskip(NEXT) | instid1(VALU_DEP_2)
	v_add_nc_u32_e32 v3, v3, v4
	v_add_co_u32 v4, vcc_lo, v0, v2
	s_delay_alu instid0(VALU_DEP_2) | instskip(SKIP_1) | instid1(VALU_DEP_1)
	v_add_nc_u32_e32 v3, v3, v5
	s_wait_alu 0xfffd
	v_add_co_ci_u32_e64 v5, null, v1, v3, vcc_lo
	global_store_b64 v[4:5], v[14:15], off
	global_wb scope:SCOPE_SYS
	s_wait_storecnt 0x0
	global_atomic_cmpswap_b64 v[2:3], v6, v[12:15], s[4:5] offset:32 th:TH_ATOMIC_RETURN scope:SCOPE_SYS
	s_wait_loadcnt 0x0
	v_cmpx_ne_u64_e64 v[2:3], v[14:15]
	s_cbranch_execz .LBB4_420
; %bb.418:
	s_mov_b32 s10, 0
.LBB4_419:                              ; =>This Inner Loop Header: Depth=1
	v_dual_mov_b32 v0, s6 :: v_dual_mov_b32 v1, s7
	s_sleep 1
	global_store_b64 v[4:5], v[2:3], off
	global_wb scope:SCOPE_SYS
	s_wait_storecnt 0x0
	global_atomic_cmpswap_b64 v[0:1], v6, v[0:3], s[4:5] offset:32 th:TH_ATOMIC_RETURN scope:SCOPE_SYS
	s_wait_loadcnt 0x0
	v_cmp_eq_u64_e32 vcc_lo, v[0:1], v[2:3]
	v_dual_mov_b32 v3, v1 :: v_dual_mov_b32 v2, v0
	s_wait_alu 0xfffe
	s_or_b32 s10, vcc_lo, s10
	s_wait_alu 0xfffe
	s_and_not1_b32 exec_lo, exec_lo, s10
	s_cbranch_execnz .LBB4_419
.LBB4_420:
	s_wait_alu 0xfffe
	s_or_b32 exec_lo, exec_lo, s9
	v_mov_b32_e32 v3, 0
	s_mov_b32 s10, exec_lo
	s_mov_b32 s9, exec_lo
	s_wait_alu 0xfffe
	v_mbcnt_lo_u32_b32 v2, s10, 0
	global_load_b64 v[0:1], v3, s[4:5] offset:16
	v_cmpx_eq_u32_e32 0, v2
	s_cbranch_execz .LBB4_422
; %bb.421:
	s_bcnt1_i32_b32 s10, s10
	s_wait_alu 0xfffe
	v_mov_b32_e32 v2, s10
	global_wb scope:SCOPE_SYS
	s_wait_loadcnt 0x0
	s_wait_storecnt 0x0
	global_atomic_add_u64 v[0:1], v[2:3], off offset:8 scope:SCOPE_SYS
.LBB4_422:
	s_or_b32 exec_lo, exec_lo, s9
	s_wait_loadcnt 0x0
	global_load_b64 v[2:3], v[0:1], off offset:16
	s_wait_loadcnt 0x0
	v_cmp_eq_u64_e32 vcc_lo, 0, v[2:3]
	s_cbranch_vccnz .LBB4_424
; %bb.423:
	global_load_b32 v0, v[0:1], off offset:24
	v_mov_b32_e32 v1, 0
	s_wait_loadcnt 0x0
	v_readfirstlane_b32 s9, v0
	global_wb scope:SCOPE_SYS
	s_wait_storecnt 0x0
	global_store_b64 v[2:3], v[0:1], off scope:SCOPE_SYS
	s_and_b32 m0, s9, 0xffffff
	s_sendmsg sendmsg(MSG_INTERRUPT)
.LBB4_424:
	s_wait_alu 0xfffe
	s_or_b32 exec_lo, exec_lo, s8
	s_branch .LBB4_428
.LBB4_425:                              ;   in Loop: Header=BB4_428 Depth=1
	s_wait_alu 0xfffe
	s_or_b32 exec_lo, exec_lo, s8
	s_delay_alu instid0(VALU_DEP_1)
	v_readfirstlane_b32 s8, v0
	s_cmp_eq_u32 s8, 0
	s_cbranch_scc1 .LBB4_427
; %bb.426:                              ;   in Loop: Header=BB4_428 Depth=1
	s_sleep 1
	s_cbranch_execnz .LBB4_428
	s_branch .LBB4_430
.LBB4_427:
	s_branch .LBB4_430
.LBB4_428:                              ; =>This Inner Loop Header: Depth=1
	v_mov_b32_e32 v0, 1
	s_and_saveexec_b32 s8, s3
	s_cbranch_execz .LBB4_425
; %bb.429:                              ;   in Loop: Header=BB4_428 Depth=1
	global_load_b32 v0, v[8:9], off offset:20 scope:SCOPE_SYS
	s_wait_loadcnt 0x0
	global_inv scope:SCOPE_SYS
	v_and_b32_e32 v0, 1, v0
	s_branch .LBB4_425
.LBB4_430:
	global_load_b64 v[0:1], v[10:11], off
	s_and_saveexec_b32 s8, s3
	s_cbranch_execz .LBB4_434
; %bb.431:
	v_mov_b32_e32 v8, 0
	s_clause 0x2
	global_load_b64 v[2:3], v8, s[4:5] offset:40
	global_load_b64 v[11:12], v8, s[4:5] offset:24 scope:SCOPE_SYS
	global_load_b64 v[4:5], v8, s[4:5]
	s_wait_loadcnt 0x2
	v_readfirstlane_b32 s10, v2
	v_readfirstlane_b32 s11, v3
	s_add_nc_u64 s[12:13], s[10:11], 1
	s_wait_alu 0xfffe
	s_add_nc_u64 s[6:7], s[12:13], s[6:7]
	s_wait_alu 0xfffe
	s_cmp_eq_u64 s[6:7], 0
	s_cselect_b32 s7, s13, s7
	s_cselect_b32 s6, s12, s6
	s_wait_alu 0xfffe
	v_mov_b32_e32 v10, s7
	s_and_b64 s[10:11], s[6:7], s[10:11]
	v_mov_b32_e32 v9, s6
	s_wait_alu 0xfffe
	s_mul_u64 s[10:11], s[10:11], 24
	s_wait_loadcnt 0x0
	s_wait_alu 0xfffe
	v_add_co_u32 v6, vcc_lo, v4, s10
	s_wait_alu 0xfffd
	v_add_co_ci_u32_e64 v7, null, s11, v5, vcc_lo
	global_store_b64 v[6:7], v[11:12], off
	global_wb scope:SCOPE_SYS
	s_wait_storecnt 0x0
	global_atomic_cmpswap_b64 v[4:5], v8, v[9:12], s[4:5] offset:24 th:TH_ATOMIC_RETURN scope:SCOPE_SYS
	s_wait_loadcnt 0x0
	v_cmp_ne_u64_e32 vcc_lo, v[4:5], v[11:12]
	s_and_b32 exec_lo, exec_lo, vcc_lo
	s_cbranch_execz .LBB4_434
; %bb.432:
	s_mov_b32 s3, 0
.LBB4_433:                              ; =>This Inner Loop Header: Depth=1
	v_dual_mov_b32 v2, s6 :: v_dual_mov_b32 v3, s7
	s_sleep 1
	global_store_b64 v[6:7], v[4:5], off
	global_wb scope:SCOPE_SYS
	s_wait_storecnt 0x0
	global_atomic_cmpswap_b64 v[2:3], v8, v[2:5], s[4:5] offset:24 th:TH_ATOMIC_RETURN scope:SCOPE_SYS
	s_wait_loadcnt 0x0
	v_cmp_eq_u64_e32 vcc_lo, v[2:3], v[4:5]
	v_dual_mov_b32 v5, v3 :: v_dual_mov_b32 v4, v2
	s_wait_alu 0xfffe
	s_or_b32 s3, vcc_lo, s3
	s_wait_alu 0xfffe
	s_and_not1_b32 exec_lo, exec_lo, s3
	s_cbranch_execnz .LBB4_433
.LBB4_434:
	s_wait_alu 0xfffe
	s_or_b32 exec_lo, exec_lo, s8
	s_getpc_b64 s[6:7]
	s_wait_alu 0xfffe
	s_sext_i32_i16 s7, s7
	s_add_co_u32 s6, s6, .str.9@rel32@lo+12
	s_wait_alu 0xfffe
	s_add_co_ci_u32 s7, s7, .str.9@rel32@hi+24
	s_wait_alu 0xfffe
	s_cmp_lg_u64 s[6:7], 0
	s_cselect_b32 s3, -1, 0
	s_cmp_eq_u64 s[6:7], 0
	s_mov_b64 s[6:7], 0
	s_cbranch_scc1 .LBB4_438
; %bb.435:
	s_getpc_b64 s[6:7]
	s_wait_alu 0xfffe
	s_sext_i32_i16 s7, s7
	s_add_co_u32 s6, s6, .str.9@rel32@lo+11
	s_wait_alu 0xfffe
	s_add_co_ci_u32 s7, s7, .str.9@rel32@hi+23
.LBB4_436:                              ; =>This Inner Loop Header: Depth=1
	s_load_u8 s8, s[6:7], 0x1
	s_add_nc_u64 s[6:7], s[6:7], 1
	s_wait_kmcnt 0x0
	s_cmp_lg_u32 s8, 0
	s_cbranch_scc1 .LBB4_436
; %bb.437:
	s_getpc_b64 s[8:9]
	s_wait_alu 0xfffe
	s_sext_i32_i16 s9, s9
	s_add_co_u32 s8, s8, .str.9@rel32@lo+12
	s_wait_alu 0xfffe
	s_add_co_ci_u32 s9, s9, .str.9@rel32@hi+24
	s_wait_alu 0xfffe
	s_sub_nc_u64 s[6:7], s[6:7], s[8:9]
	s_wait_alu 0xfffe
	s_add_nc_u64 s[6:7], s[6:7], 1
.LBB4_438:
	s_wait_alu 0xfffe
	s_and_b32 vcc_lo, exec_lo, s3
	s_wait_alu 0xfffe
	s_cbranch_vccz .LBB4_517
; %bb.439:
	s_wait_loadcnt 0x0
	v_dual_mov_b32 v7, 0 :: v_dual_and_b32 v34, 2, v0
	v_dual_mov_b32 v3, v1 :: v_dual_and_b32 v2, -3, v0
	v_dual_mov_b32 v8, 2 :: v_dual_mov_b32 v9, 1
	s_getpc_b64 s[8:9]
	s_wait_alu 0xfffe
	s_sext_i32_i16 s9, s9
	s_add_co_u32 s8, s8, .str.9@rel32@lo+12
	s_wait_alu 0xfffe
	s_add_co_ci_u32 s9, s9, .str.9@rel32@hi+24
	s_branch .LBB4_441
.LBB4_440:                              ;   in Loop: Header=BB4_441 Depth=1
	s_wait_alu 0xfffe
	s_or_b32 exec_lo, exec_lo, s14
	s_sub_nc_u64 s[6:7], s[6:7], s[10:11]
	s_add_nc_u64 s[8:9], s[8:9], s[10:11]
	s_wait_alu 0xfffe
	s_cmp_lg_u64 s[6:7], 0
	s_cbranch_scc0 .LBB4_516
.LBB4_441:                              ; =>This Loop Header: Depth=1
                                        ;     Child Loop BB4_444 Depth 2
                                        ;     Child Loop BB4_451 Depth 2
	;; [unrolled: 1-line block ×11, first 2 shown]
	v_cmp_lt_u64_e64 s3, s[6:7], 56
	v_cmp_gt_u64_e64 s12, s[6:7], 7
	s_and_b32 s3, s3, exec_lo
	s_cselect_b32 s11, s7, 0
	s_cselect_b32 s10, s6, 56
	s_and_b32 vcc_lo, exec_lo, s12
	s_wait_alu 0xfffe
	s_cbranch_vccnz .LBB4_446
; %bb.442:                              ;   in Loop: Header=BB4_441 Depth=1
	v_mov_b32_e32 v4, 0
	v_mov_b32_e32 v5, 0
	s_cmp_eq_u64 s[6:7], 0
	s_cbranch_scc1 .LBB4_445
; %bb.443:                              ;   in Loop: Header=BB4_441 Depth=1
	s_mov_b64 s[12:13], 0
	s_mov_b64 s[14:15], 0
.LBB4_444:                              ;   Parent Loop BB4_441 Depth=1
                                        ; =>  This Inner Loop Header: Depth=2
	s_wait_alu 0xfffe
	s_add_nc_u64 s[16:17], s[8:9], s[14:15]
	s_add_nc_u64 s[14:15], s[14:15], 1
	global_load_u8 v6, v7, s[16:17]
	s_wait_alu 0xfffe
	s_cmp_lg_u32 s10, s14
	s_wait_loadcnt 0x0
	v_and_b32_e32 v6, 0xffff, v6
	s_delay_alu instid0(VALU_DEP_1) | instskip(SKIP_1) | instid1(VALU_DEP_1)
	v_lshlrev_b64_e32 v[10:11], s12, v[6:7]
	s_add_nc_u64 s[12:13], s[12:13], 8
	v_or_b32_e32 v4, v10, v4
	s_delay_alu instid0(VALU_DEP_2)
	v_or_b32_e32 v5, v11, v5
	s_cbranch_scc1 .LBB4_444
.LBB4_445:                              ;   in Loop: Header=BB4_441 Depth=1
	s_mov_b64 s[14:15], s[8:9]
	s_mov_b32 s3, 0
	s_cbranch_execz .LBB4_447
	s_branch .LBB4_448
.LBB4_446:                              ;   in Loop: Header=BB4_441 Depth=1
	s_add_nc_u64 s[14:15], s[8:9], 8
	s_mov_b32 s3, 0
.LBB4_447:                              ;   in Loop: Header=BB4_441 Depth=1
	global_load_b64 v[4:5], v7, s[8:9]
	s_add_co_i32 s3, s10, -8
.LBB4_448:                              ;   in Loop: Header=BB4_441 Depth=1
	s_wait_alu 0xfffe
	s_cmp_gt_u32 s3, 7
	s_cbranch_scc1 .LBB4_453
; %bb.449:                              ;   in Loop: Header=BB4_441 Depth=1
	v_mov_b32_e32 v10, 0
	v_mov_b32_e32 v11, 0
	s_cmp_eq_u32 s3, 0
	s_cbranch_scc1 .LBB4_452
; %bb.450:                              ;   in Loop: Header=BB4_441 Depth=1
	s_mov_b64 s[12:13], 0
	s_mov_b64 s[16:17], 0
.LBB4_451:                              ;   Parent Loop BB4_441 Depth=1
                                        ; =>  This Inner Loop Header: Depth=2
	s_wait_alu 0xfffe
	s_add_nc_u64 s[18:19], s[14:15], s[16:17]
	s_add_nc_u64 s[16:17], s[16:17], 1
	global_load_u8 v6, v7, s[18:19]
	s_wait_alu 0xfffe
	s_cmp_lg_u32 s3, s16
	s_wait_loadcnt 0x0
	v_and_b32_e32 v6, 0xffff, v6
	s_delay_alu instid0(VALU_DEP_1) | instskip(SKIP_1) | instid1(VALU_DEP_1)
	v_lshlrev_b64_e32 v[12:13], s12, v[6:7]
	s_add_nc_u64 s[12:13], s[12:13], 8
	v_or_b32_e32 v10, v12, v10
	s_delay_alu instid0(VALU_DEP_2)
	v_or_b32_e32 v11, v13, v11
	s_cbranch_scc1 .LBB4_451
.LBB4_452:                              ;   in Loop: Header=BB4_441 Depth=1
	s_mov_b64 s[12:13], s[14:15]
	s_mov_b32 s18, 0
	s_cbranch_execz .LBB4_454
	s_branch .LBB4_455
.LBB4_453:                              ;   in Loop: Header=BB4_441 Depth=1
	s_add_nc_u64 s[12:13], s[14:15], 8
                                        ; implicit-def: $vgpr10_vgpr11
	s_mov_b32 s18, 0
.LBB4_454:                              ;   in Loop: Header=BB4_441 Depth=1
	global_load_b64 v[10:11], v7, s[14:15]
	s_add_co_i32 s18, s3, -8
.LBB4_455:                              ;   in Loop: Header=BB4_441 Depth=1
	s_wait_alu 0xfffe
	s_cmp_gt_u32 s18, 7
	s_cbranch_scc1 .LBB4_460
; %bb.456:                              ;   in Loop: Header=BB4_441 Depth=1
	v_mov_b32_e32 v12, 0
	v_mov_b32_e32 v13, 0
	s_cmp_eq_u32 s18, 0
	s_cbranch_scc1 .LBB4_459
; %bb.457:                              ;   in Loop: Header=BB4_441 Depth=1
	s_mov_b64 s[14:15], 0
	s_mov_b64 s[16:17], 0
.LBB4_458:                              ;   Parent Loop BB4_441 Depth=1
                                        ; =>  This Inner Loop Header: Depth=2
	s_wait_alu 0xfffe
	s_add_nc_u64 s[22:23], s[12:13], s[16:17]
	s_add_nc_u64 s[16:17], s[16:17], 1
	global_load_u8 v6, v7, s[22:23]
	s_wait_alu 0xfffe
	s_cmp_lg_u32 s18, s16
	s_wait_loadcnt 0x0
	v_and_b32_e32 v6, 0xffff, v6
	s_delay_alu instid0(VALU_DEP_1) | instskip(SKIP_1) | instid1(VALU_DEP_1)
	v_lshlrev_b64_e32 v[14:15], s14, v[6:7]
	s_add_nc_u64 s[14:15], s[14:15], 8
	v_or_b32_e32 v12, v14, v12
	s_delay_alu instid0(VALU_DEP_2)
	v_or_b32_e32 v13, v15, v13
	s_cbranch_scc1 .LBB4_458
.LBB4_459:                              ;   in Loop: Header=BB4_441 Depth=1
	s_mov_b64 s[14:15], s[12:13]
	s_mov_b32 s3, 0
	s_cbranch_execz .LBB4_461
	s_branch .LBB4_462
.LBB4_460:                              ;   in Loop: Header=BB4_441 Depth=1
	s_add_nc_u64 s[14:15], s[12:13], 8
	s_mov_b32 s3, 0
.LBB4_461:                              ;   in Loop: Header=BB4_441 Depth=1
	global_load_b64 v[12:13], v7, s[12:13]
	s_add_co_i32 s3, s18, -8
.LBB4_462:                              ;   in Loop: Header=BB4_441 Depth=1
	s_wait_alu 0xfffe
	s_cmp_gt_u32 s3, 7
	s_cbranch_scc1 .LBB4_467
; %bb.463:                              ;   in Loop: Header=BB4_441 Depth=1
	v_mov_b32_e32 v14, 0
	v_mov_b32_e32 v15, 0
	s_cmp_eq_u32 s3, 0
	s_cbranch_scc1 .LBB4_466
; %bb.464:                              ;   in Loop: Header=BB4_441 Depth=1
	s_mov_b64 s[12:13], 0
	s_mov_b64 s[16:17], 0
.LBB4_465:                              ;   Parent Loop BB4_441 Depth=1
                                        ; =>  This Inner Loop Header: Depth=2
	s_wait_alu 0xfffe
	s_add_nc_u64 s[18:19], s[14:15], s[16:17]
	s_add_nc_u64 s[16:17], s[16:17], 1
	global_load_u8 v6, v7, s[18:19]
	s_wait_alu 0xfffe
	s_cmp_lg_u32 s3, s16
	s_wait_loadcnt 0x0
	v_and_b32_e32 v6, 0xffff, v6
	s_delay_alu instid0(VALU_DEP_1) | instskip(SKIP_1) | instid1(VALU_DEP_1)
	v_lshlrev_b64_e32 v[16:17], s12, v[6:7]
	s_add_nc_u64 s[12:13], s[12:13], 8
	v_or_b32_e32 v14, v16, v14
	s_delay_alu instid0(VALU_DEP_2)
	v_or_b32_e32 v15, v17, v15
	s_cbranch_scc1 .LBB4_465
.LBB4_466:                              ;   in Loop: Header=BB4_441 Depth=1
	s_mov_b64 s[12:13], s[14:15]
	s_mov_b32 s18, 0
	s_cbranch_execz .LBB4_468
	s_branch .LBB4_469
.LBB4_467:                              ;   in Loop: Header=BB4_441 Depth=1
	s_add_nc_u64 s[12:13], s[14:15], 8
                                        ; implicit-def: $vgpr14_vgpr15
	s_mov_b32 s18, 0
.LBB4_468:                              ;   in Loop: Header=BB4_441 Depth=1
	global_load_b64 v[14:15], v7, s[14:15]
	s_add_co_i32 s18, s3, -8
.LBB4_469:                              ;   in Loop: Header=BB4_441 Depth=1
	s_wait_alu 0xfffe
	s_cmp_gt_u32 s18, 7
	s_cbranch_scc1 .LBB4_474
; %bb.470:                              ;   in Loop: Header=BB4_441 Depth=1
	v_mov_b32_e32 v16, 0
	v_mov_b32_e32 v17, 0
	s_cmp_eq_u32 s18, 0
	s_cbranch_scc1 .LBB4_473
; %bb.471:                              ;   in Loop: Header=BB4_441 Depth=1
	s_mov_b64 s[14:15], 0
	s_mov_b64 s[16:17], 0
.LBB4_472:                              ;   Parent Loop BB4_441 Depth=1
                                        ; =>  This Inner Loop Header: Depth=2
	s_wait_alu 0xfffe
	s_add_nc_u64 s[22:23], s[12:13], s[16:17]
	s_add_nc_u64 s[16:17], s[16:17], 1
	global_load_u8 v6, v7, s[22:23]
	s_wait_alu 0xfffe
	s_cmp_lg_u32 s18, s16
	s_wait_loadcnt 0x0
	v_and_b32_e32 v6, 0xffff, v6
	s_delay_alu instid0(VALU_DEP_1) | instskip(SKIP_1) | instid1(VALU_DEP_1)
	v_lshlrev_b64_e32 v[18:19], s14, v[6:7]
	s_add_nc_u64 s[14:15], s[14:15], 8
	v_or_b32_e32 v16, v18, v16
	s_delay_alu instid0(VALU_DEP_2)
	v_or_b32_e32 v17, v19, v17
	s_cbranch_scc1 .LBB4_472
.LBB4_473:                              ;   in Loop: Header=BB4_441 Depth=1
	s_mov_b64 s[14:15], s[12:13]
	s_mov_b32 s3, 0
	s_cbranch_execz .LBB4_475
	s_branch .LBB4_476
.LBB4_474:                              ;   in Loop: Header=BB4_441 Depth=1
	s_add_nc_u64 s[14:15], s[12:13], 8
	s_mov_b32 s3, 0
.LBB4_475:                              ;   in Loop: Header=BB4_441 Depth=1
	global_load_b64 v[16:17], v7, s[12:13]
	s_add_co_i32 s3, s18, -8
.LBB4_476:                              ;   in Loop: Header=BB4_441 Depth=1
	s_wait_alu 0xfffe
	s_cmp_gt_u32 s3, 7
	s_cbranch_scc1 .LBB4_481
; %bb.477:                              ;   in Loop: Header=BB4_441 Depth=1
	v_mov_b32_e32 v18, 0
	v_mov_b32_e32 v19, 0
	s_cmp_eq_u32 s3, 0
	s_cbranch_scc1 .LBB4_480
; %bb.478:                              ;   in Loop: Header=BB4_441 Depth=1
	s_mov_b64 s[12:13], 0
	s_mov_b64 s[16:17], 0
.LBB4_479:                              ;   Parent Loop BB4_441 Depth=1
                                        ; =>  This Inner Loop Header: Depth=2
	s_wait_alu 0xfffe
	s_add_nc_u64 s[18:19], s[14:15], s[16:17]
	s_add_nc_u64 s[16:17], s[16:17], 1
	global_load_u8 v6, v7, s[18:19]
	s_wait_alu 0xfffe
	s_cmp_lg_u32 s3, s16
	s_wait_loadcnt 0x0
	v_and_b32_e32 v6, 0xffff, v6
	s_delay_alu instid0(VALU_DEP_1) | instskip(SKIP_1) | instid1(VALU_DEP_1)
	v_lshlrev_b64_e32 v[20:21], s12, v[6:7]
	s_add_nc_u64 s[12:13], s[12:13], 8
	v_or_b32_e32 v18, v20, v18
	s_delay_alu instid0(VALU_DEP_2)
	v_or_b32_e32 v19, v21, v19
	s_cbranch_scc1 .LBB4_479
.LBB4_480:                              ;   in Loop: Header=BB4_441 Depth=1
	s_mov_b64 s[12:13], s[14:15]
	s_mov_b32 s18, 0
	s_cbranch_execz .LBB4_482
	s_branch .LBB4_483
.LBB4_481:                              ;   in Loop: Header=BB4_441 Depth=1
	s_add_nc_u64 s[12:13], s[14:15], 8
                                        ; implicit-def: $vgpr18_vgpr19
	s_mov_b32 s18, 0
.LBB4_482:                              ;   in Loop: Header=BB4_441 Depth=1
	global_load_b64 v[18:19], v7, s[14:15]
	s_add_co_i32 s18, s3, -8
.LBB4_483:                              ;   in Loop: Header=BB4_441 Depth=1
	s_wait_alu 0xfffe
	s_cmp_gt_u32 s18, 7
	s_cbranch_scc1 .LBB4_488
; %bb.484:                              ;   in Loop: Header=BB4_441 Depth=1
	v_mov_b32_e32 v20, 0
	v_mov_b32_e32 v21, 0
	s_cmp_eq_u32 s18, 0
	s_cbranch_scc1 .LBB4_487
; %bb.485:                              ;   in Loop: Header=BB4_441 Depth=1
	s_mov_b64 s[14:15], 0
	s_mov_b64 s[16:17], s[12:13]
.LBB4_486:                              ;   Parent Loop BB4_441 Depth=1
                                        ; =>  This Inner Loop Header: Depth=2
	global_load_u8 v6, v7, s[16:17]
	s_add_co_i32 s18, s18, -1
	s_wait_alu 0xfffe
	s_add_nc_u64 s[16:17], s[16:17], 1
	s_cmp_lg_u32 s18, 0
	s_wait_loadcnt 0x0
	v_and_b32_e32 v6, 0xffff, v6
	s_delay_alu instid0(VALU_DEP_1) | instskip(SKIP_1) | instid1(VALU_DEP_1)
	v_lshlrev_b64_e32 v[22:23], s14, v[6:7]
	s_add_nc_u64 s[14:15], s[14:15], 8
	v_or_b32_e32 v20, v22, v20
	s_delay_alu instid0(VALU_DEP_2)
	v_or_b32_e32 v21, v23, v21
	s_cbranch_scc1 .LBB4_486
.LBB4_487:                              ;   in Loop: Header=BB4_441 Depth=1
	s_cbranch_execz .LBB4_489
	s_branch .LBB4_490
.LBB4_488:                              ;   in Loop: Header=BB4_441 Depth=1
.LBB4_489:                              ;   in Loop: Header=BB4_441 Depth=1
	global_load_b64 v[20:21], v7, s[12:13]
.LBB4_490:                              ;   in Loop: Header=BB4_441 Depth=1
	v_readfirstlane_b32 s3, v33
	v_mov_b32_e32 v27, 0
	v_mov_b32_e32 v28, 0
	s_wait_alu 0xf1ff
	s_delay_alu instid0(VALU_DEP_3)
	v_cmp_eq_u32_e64 s3, s3, v33
	s_and_saveexec_b32 s12, s3
	s_cbranch_execz .LBB4_496
; %bb.491:                              ;   in Loop: Header=BB4_441 Depth=1
	global_load_b64 v[24:25], v7, s[4:5] offset:24 scope:SCOPE_SYS
	s_wait_loadcnt 0x0
	global_inv scope:SCOPE_SYS
	s_clause 0x1
	global_load_b64 v[22:23], v7, s[4:5] offset:40
	global_load_b64 v[27:28], v7, s[4:5]
	s_mov_b32 s13, exec_lo
	s_wait_loadcnt 0x1
	v_and_b32_e32 v6, v23, v25
	v_and_b32_e32 v22, v22, v24
	s_delay_alu instid0(VALU_DEP_2) | instskip(NEXT) | instid1(VALU_DEP_2)
	v_mul_lo_u32 v6, 24, v6
	v_mul_lo_u32 v23, 0, v22
	v_mul_hi_u32 v29, 24, v22
	v_mul_lo_u32 v22, 24, v22
	s_delay_alu instid0(VALU_DEP_3) | instskip(SKIP_1) | instid1(VALU_DEP_2)
	v_add_nc_u32_e32 v6, v6, v23
	s_wait_loadcnt 0x0
	v_add_co_u32 v22, vcc_lo, v27, v22
	s_delay_alu instid0(VALU_DEP_2) | instskip(SKIP_1) | instid1(VALU_DEP_1)
	v_add_nc_u32_e32 v6, v6, v29
	s_wait_alu 0xfffd
	v_add_co_ci_u32_e64 v23, null, v28, v6, vcc_lo
	global_load_b64 v[22:23], v[22:23], off scope:SCOPE_SYS
	s_wait_loadcnt 0x0
	global_atomic_cmpswap_b64 v[27:28], v7, v[22:25], s[4:5] offset:24 th:TH_ATOMIC_RETURN scope:SCOPE_SYS
	s_wait_loadcnt 0x0
	global_inv scope:SCOPE_SYS
	v_cmpx_ne_u64_e64 v[27:28], v[24:25]
	s_cbranch_execz .LBB4_495
; %bb.492:                              ;   in Loop: Header=BB4_441 Depth=1
	s_mov_b32 s14, 0
.LBB4_493:                              ;   Parent Loop BB4_441 Depth=1
                                        ; =>  This Inner Loop Header: Depth=2
	s_sleep 1
	s_clause 0x1
	global_load_b64 v[22:23], v7, s[4:5] offset:40
	global_load_b64 v[29:30], v7, s[4:5]
	v_dual_mov_b32 v24, v27 :: v_dual_mov_b32 v25, v28
	s_wait_loadcnt 0x1
	s_delay_alu instid0(VALU_DEP_1) | instskip(NEXT) | instid1(VALU_DEP_2)
	v_and_b32_e32 v6, v22, v24
	v_and_b32_e32 v22, v23, v25
	s_wait_loadcnt 0x0
	s_delay_alu instid0(VALU_DEP_2) | instskip(NEXT) | instid1(VALU_DEP_1)
	v_mad_co_u64_u32 v[27:28], null, v6, 24, v[29:30]
	v_mov_b32_e32 v6, v28
	s_delay_alu instid0(VALU_DEP_1) | instskip(NEXT) | instid1(VALU_DEP_1)
	v_mad_co_u64_u32 v[22:23], null, v22, 24, v[6:7]
	v_mov_b32_e32 v28, v22
	global_load_b64 v[22:23], v[27:28], off scope:SCOPE_SYS
	s_wait_loadcnt 0x0
	global_atomic_cmpswap_b64 v[27:28], v7, v[22:25], s[4:5] offset:24 th:TH_ATOMIC_RETURN scope:SCOPE_SYS
	s_wait_loadcnt 0x0
	global_inv scope:SCOPE_SYS
	v_cmp_eq_u64_e32 vcc_lo, v[27:28], v[24:25]
	s_wait_alu 0xfffe
	s_or_b32 s14, vcc_lo, s14
	s_wait_alu 0xfffe
	s_and_not1_b32 exec_lo, exec_lo, s14
	s_cbranch_execnz .LBB4_493
; %bb.494:                              ;   in Loop: Header=BB4_441 Depth=1
	s_or_b32 exec_lo, exec_lo, s14
.LBB4_495:                              ;   in Loop: Header=BB4_441 Depth=1
	s_wait_alu 0xfffe
	s_or_b32 exec_lo, exec_lo, s13
.LBB4_496:                              ;   in Loop: Header=BB4_441 Depth=1
	s_wait_alu 0xfffe
	s_or_b32 exec_lo, exec_lo, s12
	s_clause 0x1
	global_load_b64 v[29:30], v7, s[4:5] offset:40
	global_load_b128 v[22:25], v7, s[4:5]
	v_readfirstlane_b32 s13, v28
	v_readfirstlane_b32 s12, v27
	s_mov_b32 s14, exec_lo
	s_wait_loadcnt 0x1
	s_wait_alu 0xf1ff
	v_and_b32_e32 v30, s13, v30
	v_and_b32_e32 v29, s12, v29
	s_delay_alu instid0(VALU_DEP_2) | instskip(NEXT) | instid1(VALU_DEP_2)
	v_mul_lo_u32 v6, 24, v30
	v_mul_lo_u32 v27, 0, v29
	v_mul_hi_u32 v28, 24, v29
	v_mul_lo_u32 v35, 24, v29
	s_delay_alu instid0(VALU_DEP_3) | instskip(SKIP_1) | instid1(VALU_DEP_2)
	v_add_nc_u32_e32 v6, v6, v27
	s_wait_loadcnt 0x0
	v_add_co_u32 v27, vcc_lo, v22, v35
	s_delay_alu instid0(VALU_DEP_2) | instskip(SKIP_1) | instid1(VALU_DEP_1)
	v_add_nc_u32_e32 v6, v6, v28
	s_wait_alu 0xfffd
	v_add_co_ci_u32_e64 v28, null, v23, v6, vcc_lo
	s_and_saveexec_b32 s15, s3
	s_cbranch_execz .LBB4_498
; %bb.497:                              ;   in Loop: Header=BB4_441 Depth=1
	s_wait_alu 0xfffe
	v_mov_b32_e32 v6, s14
	global_store_b128 v[27:28], v[6:9], off offset:8
.LBB4_498:                              ;   in Loop: Header=BB4_441 Depth=1
	s_wait_alu 0xfffe
	s_or_b32 exec_lo, exec_lo, s15
	v_cmp_lt_u64_e64 vcc_lo, s[6:7], 57
	v_lshlrev_b64_e32 v[29:30], 12, v[29:30]
	v_and_b32_e32 v2, 0xffffff1f, v2
	s_lshl_b32 s14, s10, 2
	s_wait_alu 0xfffe
	s_add_co_i32 s14, s14, 28
	s_wait_alu 0xfffd
	v_cndmask_b32_e32 v6, 0, v34, vcc_lo
	v_add_co_u32 v24, vcc_lo, v24, v29
	s_wait_alu 0xfffd
	v_add_co_ci_u32_e64 v25, null, v25, v30, vcc_lo
	s_delay_alu instid0(VALU_DEP_3) | instskip(NEXT) | instid1(VALU_DEP_2)
	v_or_b32_e32 v2, v2, v6
	v_readfirstlane_b32 s15, v25
	s_wait_alu 0xfffe
	s_delay_alu instid0(VALU_DEP_2)
	v_and_or_b32 v2, 0x1e0, s14, v2
	v_readfirstlane_b32 s14, v24
	s_clause 0x3
	global_store_b128 v32, v[2:5], s[14:15]
	global_store_b128 v32, v[10:13], s[14:15] offset:16
	global_store_b128 v32, v[14:17], s[14:15] offset:32
	;; [unrolled: 1-line block ×3, first 2 shown]
	s_and_saveexec_b32 s14, s3
	s_cbranch_execz .LBB4_506
; %bb.499:                              ;   in Loop: Header=BB4_441 Depth=1
	s_clause 0x1
	global_load_b64 v[14:15], v7, s[4:5] offset:32 scope:SCOPE_SYS
	global_load_b64 v[2:3], v7, s[4:5] offset:40
	s_mov_b32 s15, exec_lo
	v_dual_mov_b32 v12, s12 :: v_dual_mov_b32 v13, s13
	s_wait_loadcnt 0x0
	v_and_b32_e32 v2, s12, v2
	v_and_b32_e32 v3, s13, v3
	s_delay_alu instid0(VALU_DEP_2) | instskip(NEXT) | instid1(VALU_DEP_2)
	v_mul_lo_u32 v4, 0, v2
	v_mul_lo_u32 v3, 24, v3
	v_mul_hi_u32 v5, 24, v2
	v_mul_lo_u32 v2, 24, v2
	s_delay_alu instid0(VALU_DEP_3) | instskip(NEXT) | instid1(VALU_DEP_2)
	v_add_nc_u32_e32 v3, v3, v4
	v_add_co_u32 v10, vcc_lo, v22, v2
	s_delay_alu instid0(VALU_DEP_2) | instskip(SKIP_1) | instid1(VALU_DEP_1)
	v_add_nc_u32_e32 v3, v3, v5
	s_wait_alu 0xfffd
	v_add_co_ci_u32_e64 v11, null, v23, v3, vcc_lo
	global_store_b64 v[10:11], v[14:15], off
	global_wb scope:SCOPE_SYS
	s_wait_storecnt 0x0
	global_atomic_cmpswap_b64 v[4:5], v7, v[12:15], s[4:5] offset:32 th:TH_ATOMIC_RETURN scope:SCOPE_SYS
	s_wait_loadcnt 0x0
	v_cmpx_ne_u64_e64 v[4:5], v[14:15]
	s_cbranch_execz .LBB4_502
; %bb.500:                              ;   in Loop: Header=BB4_441 Depth=1
	s_mov_b32 s16, 0
.LBB4_501:                              ;   Parent Loop BB4_441 Depth=1
                                        ; =>  This Inner Loop Header: Depth=2
	v_dual_mov_b32 v2, s12 :: v_dual_mov_b32 v3, s13
	s_sleep 1
	global_store_b64 v[10:11], v[4:5], off
	global_wb scope:SCOPE_SYS
	s_wait_storecnt 0x0
	global_atomic_cmpswap_b64 v[2:3], v7, v[2:5], s[4:5] offset:32 th:TH_ATOMIC_RETURN scope:SCOPE_SYS
	s_wait_loadcnt 0x0
	v_cmp_eq_u64_e32 vcc_lo, v[2:3], v[4:5]
	v_dual_mov_b32 v5, v3 :: v_dual_mov_b32 v4, v2
	s_wait_alu 0xfffe
	s_or_b32 s16, vcc_lo, s16
	s_wait_alu 0xfffe
	s_and_not1_b32 exec_lo, exec_lo, s16
	s_cbranch_execnz .LBB4_501
.LBB4_502:                              ;   in Loop: Header=BB4_441 Depth=1
	s_wait_alu 0xfffe
	s_or_b32 exec_lo, exec_lo, s15
	global_load_b64 v[2:3], v7, s[4:5] offset:16
	s_mov_b32 s16, exec_lo
	s_mov_b32 s15, exec_lo
	s_wait_alu 0xfffe
	v_mbcnt_lo_u32_b32 v4, s16, 0
	s_delay_alu instid0(VALU_DEP_1)
	v_cmpx_eq_u32_e32 0, v4
	s_cbranch_execz .LBB4_504
; %bb.503:                              ;   in Loop: Header=BB4_441 Depth=1
	s_bcnt1_i32_b32 s16, s16
	s_wait_alu 0xfffe
	v_mov_b32_e32 v6, s16
	global_wb scope:SCOPE_SYS
	s_wait_loadcnt 0x0
	s_wait_storecnt 0x0
	global_atomic_add_u64 v[2:3], v[6:7], off offset:8 scope:SCOPE_SYS
.LBB4_504:                              ;   in Loop: Header=BB4_441 Depth=1
	s_or_b32 exec_lo, exec_lo, s15
	s_wait_loadcnt 0x0
	global_load_b64 v[4:5], v[2:3], off offset:16
	s_wait_loadcnt 0x0
	v_cmp_eq_u64_e32 vcc_lo, 0, v[4:5]
	s_cbranch_vccnz .LBB4_506
; %bb.505:                              ;   in Loop: Header=BB4_441 Depth=1
	global_load_b32 v6, v[2:3], off offset:24
	s_wait_loadcnt 0x0
	v_readfirstlane_b32 s15, v6
	global_wb scope:SCOPE_SYS
	s_wait_storecnt 0x0
	global_store_b64 v[4:5], v[6:7], off scope:SCOPE_SYS
	s_and_b32 m0, s15, 0xffffff
	s_sendmsg sendmsg(MSG_INTERRUPT)
.LBB4_506:                              ;   in Loop: Header=BB4_441 Depth=1
	s_wait_alu 0xfffe
	s_or_b32 exec_lo, exec_lo, s14
	v_add_co_u32 v2, vcc_lo, v24, v32
	s_wait_alu 0xfffd
	v_add_co_ci_u32_e64 v3, null, 0, v25, vcc_lo
	s_branch .LBB4_510
.LBB4_507:                              ;   in Loop: Header=BB4_510 Depth=2
	s_wait_alu 0xfffe
	s_or_b32 exec_lo, exec_lo, s14
	s_delay_alu instid0(VALU_DEP_1)
	v_readfirstlane_b32 s14, v4
	s_cmp_eq_u32 s14, 0
	s_cbranch_scc1 .LBB4_509
; %bb.508:                              ;   in Loop: Header=BB4_510 Depth=2
	s_sleep 1
	s_cbranch_execnz .LBB4_510
	s_branch .LBB4_512
.LBB4_509:                              ;   in Loop: Header=BB4_441 Depth=1
	s_branch .LBB4_512
.LBB4_510:                              ;   Parent Loop BB4_441 Depth=1
                                        ; =>  This Inner Loop Header: Depth=2
	v_mov_b32_e32 v4, 1
	s_and_saveexec_b32 s14, s3
	s_cbranch_execz .LBB4_507
; %bb.511:                              ;   in Loop: Header=BB4_510 Depth=2
	global_load_b32 v4, v[27:28], off offset:20 scope:SCOPE_SYS
	s_wait_loadcnt 0x0
	global_inv scope:SCOPE_SYS
	v_and_b32_e32 v4, 1, v4
	s_branch .LBB4_507
.LBB4_512:                              ;   in Loop: Header=BB4_441 Depth=1
	global_load_b64 v[2:3], v[2:3], off
	s_and_saveexec_b32 s14, s3
	s_cbranch_execz .LBB4_440
; %bb.513:                              ;   in Loop: Header=BB4_441 Depth=1
	s_clause 0x2
	global_load_b64 v[4:5], v7, s[4:5] offset:40
	global_load_b64 v[14:15], v7, s[4:5] offset:24 scope:SCOPE_SYS
	global_load_b64 v[10:11], v7, s[4:5]
	s_wait_loadcnt 0x2
	v_readfirstlane_b32 s16, v4
	v_readfirstlane_b32 s17, v5
	s_add_nc_u64 s[18:19], s[16:17], 1
	s_wait_alu 0xfffe
	s_add_nc_u64 s[12:13], s[18:19], s[12:13]
	s_wait_alu 0xfffe
	s_cmp_eq_u64 s[12:13], 0
	s_cselect_b32 s13, s19, s13
	s_cselect_b32 s12, s18, s12
	s_wait_alu 0xfffe
	v_dual_mov_b32 v13, s13 :: v_dual_mov_b32 v12, s12
	s_and_b64 s[16:17], s[12:13], s[16:17]
	s_wait_alu 0xfffe
	s_mul_u64 s[16:17], s[16:17], 24
	s_wait_loadcnt 0x0
	s_wait_alu 0xfffe
	v_add_co_u32 v4, vcc_lo, v10, s16
	s_wait_alu 0xfffd
	v_add_co_ci_u32_e64 v5, null, s17, v11, vcc_lo
	global_store_b64 v[4:5], v[14:15], off
	global_wb scope:SCOPE_SYS
	s_wait_storecnt 0x0
	global_atomic_cmpswap_b64 v[12:13], v7, v[12:15], s[4:5] offset:24 th:TH_ATOMIC_RETURN scope:SCOPE_SYS
	s_wait_loadcnt 0x0
	v_cmp_ne_u64_e32 vcc_lo, v[12:13], v[14:15]
	s_and_b32 exec_lo, exec_lo, vcc_lo
	s_cbranch_execz .LBB4_440
; %bb.514:                              ;   in Loop: Header=BB4_441 Depth=1
	s_mov_b32 s3, 0
.LBB4_515:                              ;   Parent Loop BB4_441 Depth=1
                                        ; =>  This Inner Loop Header: Depth=2
	v_dual_mov_b32 v10, s12 :: v_dual_mov_b32 v11, s13
	s_sleep 1
	global_store_b64 v[4:5], v[12:13], off
	global_wb scope:SCOPE_SYS
	s_wait_storecnt 0x0
	global_atomic_cmpswap_b64 v[10:11], v7, v[10:13], s[4:5] offset:24 th:TH_ATOMIC_RETURN scope:SCOPE_SYS
	s_wait_loadcnt 0x0
	v_cmp_eq_u64_e32 vcc_lo, v[10:11], v[12:13]
	v_dual_mov_b32 v13, v11 :: v_dual_mov_b32 v12, v10
	s_wait_alu 0xfffe
	s_or_b32 s3, vcc_lo, s3
	s_wait_alu 0xfffe
	s_and_not1_b32 exec_lo, exec_lo, s3
	s_cbranch_execnz .LBB4_515
	s_branch .LBB4_440
.LBB4_516:
	s_branch .LBB4_545
.LBB4_517:
                                        ; implicit-def: $vgpr2_vgpr3
	s_cbranch_execz .LBB4_545
; %bb.518:
	v_readfirstlane_b32 s3, v33
	v_mov_b32_e32 v8, 0
	v_mov_b32_e32 v9, 0
	s_wait_alu 0xf1ff
	s_delay_alu instid0(VALU_DEP_3)
	v_cmp_eq_u32_e64 s3, s3, v33
	s_and_saveexec_b32 s6, s3
	s_cbranch_execz .LBB4_524
; %bb.519:
	s_wait_loadcnt 0x0
	v_mov_b32_e32 v2, 0
	s_mov_b32 s7, exec_lo
	global_load_b64 v[5:6], v2, s[4:5] offset:24 scope:SCOPE_SYS
	s_wait_loadcnt 0x0
	global_inv scope:SCOPE_SYS
	s_clause 0x1
	global_load_b64 v[3:4], v2, s[4:5] offset:40
	global_load_b64 v[7:8], v2, s[4:5]
	s_wait_loadcnt 0x1
	v_and_b32_e32 v4, v4, v6
	v_and_b32_e32 v3, v3, v5
	s_delay_alu instid0(VALU_DEP_2) | instskip(NEXT) | instid1(VALU_DEP_2)
	v_mul_lo_u32 v4, 24, v4
	v_mul_lo_u32 v9, 0, v3
	v_mul_hi_u32 v10, 24, v3
	v_mul_lo_u32 v3, 24, v3
	s_delay_alu instid0(VALU_DEP_3) | instskip(SKIP_1) | instid1(VALU_DEP_2)
	v_add_nc_u32_e32 v4, v4, v9
	s_wait_loadcnt 0x0
	v_add_co_u32 v3, vcc_lo, v7, v3
	s_delay_alu instid0(VALU_DEP_2) | instskip(SKIP_1) | instid1(VALU_DEP_1)
	v_add_nc_u32_e32 v4, v4, v10
	s_wait_alu 0xfffd
	v_add_co_ci_u32_e64 v4, null, v8, v4, vcc_lo
	global_load_b64 v[3:4], v[3:4], off scope:SCOPE_SYS
	s_wait_loadcnt 0x0
	global_atomic_cmpswap_b64 v[8:9], v2, v[3:6], s[4:5] offset:24 th:TH_ATOMIC_RETURN scope:SCOPE_SYS
	s_wait_loadcnt 0x0
	global_inv scope:SCOPE_SYS
	v_cmpx_ne_u64_e64 v[8:9], v[5:6]
	s_cbranch_execz .LBB4_523
; %bb.520:
	s_mov_b32 s8, 0
.LBB4_521:                              ; =>This Inner Loop Header: Depth=1
	s_sleep 1
	s_clause 0x1
	global_load_b64 v[3:4], v2, s[4:5] offset:40
	global_load_b64 v[10:11], v2, s[4:5]
	v_dual_mov_b32 v5, v8 :: v_dual_mov_b32 v6, v9
	s_wait_loadcnt 0x1
	s_delay_alu instid0(VALU_DEP_1) | instskip(NEXT) | instid1(VALU_DEP_2)
	v_and_b32_e32 v3, v3, v5
	v_and_b32_e32 v4, v4, v6
	s_wait_loadcnt 0x0
	s_delay_alu instid0(VALU_DEP_2) | instskip(NEXT) | instid1(VALU_DEP_1)
	v_mad_co_u64_u32 v[7:8], null, v3, 24, v[10:11]
	v_mov_b32_e32 v3, v8
	s_delay_alu instid0(VALU_DEP_1) | instskip(NEXT) | instid1(VALU_DEP_1)
	v_mad_co_u64_u32 v[3:4], null, v4, 24, v[3:4]
	v_mov_b32_e32 v8, v3
	global_load_b64 v[3:4], v[7:8], off scope:SCOPE_SYS
	s_wait_loadcnt 0x0
	global_atomic_cmpswap_b64 v[8:9], v2, v[3:6], s[4:5] offset:24 th:TH_ATOMIC_RETURN scope:SCOPE_SYS
	s_wait_loadcnt 0x0
	global_inv scope:SCOPE_SYS
	v_cmp_eq_u64_e32 vcc_lo, v[8:9], v[5:6]
	s_wait_alu 0xfffe
	s_or_b32 s8, vcc_lo, s8
	s_wait_alu 0xfffe
	s_and_not1_b32 exec_lo, exec_lo, s8
	s_cbranch_execnz .LBB4_521
; %bb.522:
	s_or_b32 exec_lo, exec_lo, s8
.LBB4_523:
	s_wait_alu 0xfffe
	s_or_b32 exec_lo, exec_lo, s7
.LBB4_524:
	s_wait_alu 0xfffe
	s_or_b32 exec_lo, exec_lo, s6
	v_readfirstlane_b32 s7, v9
	s_wait_loadcnt 0x0
	v_mov_b32_e32 v2, 0
	v_readfirstlane_b32 s6, v8
	s_mov_b32 s8, exec_lo
	s_clause 0x1
	global_load_b64 v[10:11], v2, s[4:5] offset:40
	global_load_b128 v[4:7], v2, s[4:5]
	s_wait_loadcnt 0x1
	s_wait_alu 0xf1ff
	v_and_b32_e32 v11, s7, v11
	v_and_b32_e32 v10, s6, v10
	s_delay_alu instid0(VALU_DEP_2) | instskip(NEXT) | instid1(VALU_DEP_2)
	v_mul_lo_u32 v3, 24, v11
	v_mul_lo_u32 v8, 0, v10
	v_mul_hi_u32 v9, 24, v10
	v_mul_lo_u32 v12, 24, v10
	s_delay_alu instid0(VALU_DEP_3) | instskip(SKIP_1) | instid1(VALU_DEP_2)
	v_add_nc_u32_e32 v3, v3, v8
	s_wait_loadcnt 0x0
	v_add_co_u32 v8, vcc_lo, v4, v12
	s_delay_alu instid0(VALU_DEP_2) | instskip(SKIP_1) | instid1(VALU_DEP_1)
	v_add_nc_u32_e32 v3, v3, v9
	s_wait_alu 0xfffd
	v_add_co_ci_u32_e64 v9, null, v5, v3, vcc_lo
	s_and_saveexec_b32 s9, s3
	s_cbranch_execz .LBB4_526
; %bb.525:
	s_wait_alu 0xfffe
	v_dual_mov_b32 v12, s8 :: v_dual_mov_b32 v13, v2
	v_dual_mov_b32 v14, 2 :: v_dual_mov_b32 v15, 1
	global_store_b128 v[8:9], v[12:15], off offset:8
.LBB4_526:
	s_wait_alu 0xfffe
	s_or_b32 exec_lo, exec_lo, s9
	v_lshlrev_b64_e32 v[10:11], 12, v[10:11]
	s_mov_b32 s8, 0
	v_and_or_b32 v0, 0xffffff1f, v0, 32
	s_wait_alu 0xfffe
	s_mov_b32 s11, s8
	s_mov_b32 s9, s8
	;; [unrolled: 1-line block ×3, first 2 shown]
	v_add_co_u32 v6, vcc_lo, v6, v10
	s_wait_alu 0xfffd
	v_add_co_ci_u32_e64 v7, null, v7, v11, vcc_lo
	v_mov_b32_e32 v3, v2
	s_delay_alu instid0(VALU_DEP_3) | instskip(SKIP_1) | instid1(VALU_DEP_4)
	v_readfirstlane_b32 s12, v6
	v_add_co_u32 v6, vcc_lo, v6, v32
	v_readfirstlane_b32 s13, v7
	s_wait_alu 0xfffe
	v_dual_mov_b32 v13, s11 :: v_dual_mov_b32 v10, s8
	s_wait_alu 0xfffd
	v_add_co_ci_u32_e64 v7, null, 0, v7, vcc_lo
	v_dual_mov_b32 v12, s10 :: v_dual_mov_b32 v11, s9
	s_clause 0x3
	global_store_b128 v32, v[0:3], s[12:13]
	global_store_b128 v32, v[10:13], s[12:13] offset:16
	global_store_b128 v32, v[10:13], s[12:13] offset:32
	;; [unrolled: 1-line block ×3, first 2 shown]
	s_and_saveexec_b32 s8, s3
	s_cbranch_execz .LBB4_534
; %bb.527:
	v_mov_b32_e32 v10, 0
	s_mov_b32 s9, exec_lo
	s_clause 0x1
	global_load_b64 v[13:14], v10, s[4:5] offset:32 scope:SCOPE_SYS
	global_load_b64 v[0:1], v10, s[4:5] offset:40
	v_dual_mov_b32 v11, s6 :: v_dual_mov_b32 v12, s7
	s_wait_loadcnt 0x0
	v_and_b32_e32 v1, s7, v1
	v_and_b32_e32 v0, s6, v0
	s_delay_alu instid0(VALU_DEP_2) | instskip(NEXT) | instid1(VALU_DEP_2)
	v_mul_lo_u32 v1, 24, v1
	v_mul_lo_u32 v2, 0, v0
	v_mul_hi_u32 v3, 24, v0
	v_mul_lo_u32 v0, 24, v0
	s_delay_alu instid0(VALU_DEP_3) | instskip(NEXT) | instid1(VALU_DEP_2)
	v_add_nc_u32_e32 v1, v1, v2
	v_add_co_u32 v4, vcc_lo, v4, v0
	s_delay_alu instid0(VALU_DEP_2) | instskip(SKIP_1) | instid1(VALU_DEP_1)
	v_add_nc_u32_e32 v1, v1, v3
	s_wait_alu 0xfffd
	v_add_co_ci_u32_e64 v5, null, v5, v1, vcc_lo
	global_store_b64 v[4:5], v[13:14], off
	global_wb scope:SCOPE_SYS
	s_wait_storecnt 0x0
	global_atomic_cmpswap_b64 v[2:3], v10, v[11:14], s[4:5] offset:32 th:TH_ATOMIC_RETURN scope:SCOPE_SYS
	s_wait_loadcnt 0x0
	v_cmpx_ne_u64_e64 v[2:3], v[13:14]
	s_cbranch_execz .LBB4_530
; %bb.528:
	s_mov_b32 s10, 0
.LBB4_529:                              ; =>This Inner Loop Header: Depth=1
	v_dual_mov_b32 v0, s6 :: v_dual_mov_b32 v1, s7
	s_sleep 1
	global_store_b64 v[4:5], v[2:3], off
	global_wb scope:SCOPE_SYS
	s_wait_storecnt 0x0
	global_atomic_cmpswap_b64 v[0:1], v10, v[0:3], s[4:5] offset:32 th:TH_ATOMIC_RETURN scope:SCOPE_SYS
	s_wait_loadcnt 0x0
	v_cmp_eq_u64_e32 vcc_lo, v[0:1], v[2:3]
	v_dual_mov_b32 v3, v1 :: v_dual_mov_b32 v2, v0
	s_wait_alu 0xfffe
	s_or_b32 s10, vcc_lo, s10
	s_wait_alu 0xfffe
	s_and_not1_b32 exec_lo, exec_lo, s10
	s_cbranch_execnz .LBB4_529
.LBB4_530:
	s_wait_alu 0xfffe
	s_or_b32 exec_lo, exec_lo, s9
	v_mov_b32_e32 v3, 0
	s_mov_b32 s10, exec_lo
	s_mov_b32 s9, exec_lo
	s_wait_alu 0xfffe
	v_mbcnt_lo_u32_b32 v2, s10, 0
	global_load_b64 v[0:1], v3, s[4:5] offset:16
	v_cmpx_eq_u32_e32 0, v2
	s_cbranch_execz .LBB4_532
; %bb.531:
	s_bcnt1_i32_b32 s10, s10
	s_wait_alu 0xfffe
	v_mov_b32_e32 v2, s10
	global_wb scope:SCOPE_SYS
	s_wait_loadcnt 0x0
	s_wait_storecnt 0x0
	global_atomic_add_u64 v[0:1], v[2:3], off offset:8 scope:SCOPE_SYS
.LBB4_532:
	s_or_b32 exec_lo, exec_lo, s9
	s_wait_loadcnt 0x0
	global_load_b64 v[2:3], v[0:1], off offset:16
	s_wait_loadcnt 0x0
	v_cmp_eq_u64_e32 vcc_lo, 0, v[2:3]
	s_cbranch_vccnz .LBB4_534
; %bb.533:
	global_load_b32 v0, v[0:1], off offset:24
	v_mov_b32_e32 v1, 0
	s_wait_loadcnt 0x0
	v_readfirstlane_b32 s9, v0
	global_wb scope:SCOPE_SYS
	s_wait_storecnt 0x0
	global_store_b64 v[2:3], v[0:1], off scope:SCOPE_SYS
	s_and_b32 m0, s9, 0xffffff
	s_sendmsg sendmsg(MSG_INTERRUPT)
.LBB4_534:
	s_wait_alu 0xfffe
	s_or_b32 exec_lo, exec_lo, s8
	s_branch .LBB4_538
.LBB4_535:                              ;   in Loop: Header=BB4_538 Depth=1
	s_wait_alu 0xfffe
	s_or_b32 exec_lo, exec_lo, s8
	s_delay_alu instid0(VALU_DEP_1)
	v_readfirstlane_b32 s8, v0
	s_cmp_eq_u32 s8, 0
	s_cbranch_scc1 .LBB4_537
; %bb.536:                              ;   in Loop: Header=BB4_538 Depth=1
	s_sleep 1
	s_cbranch_execnz .LBB4_538
	s_branch .LBB4_540
.LBB4_537:
	s_branch .LBB4_540
.LBB4_538:                              ; =>This Inner Loop Header: Depth=1
	v_mov_b32_e32 v0, 1
	s_and_saveexec_b32 s8, s3
	s_cbranch_execz .LBB4_535
; %bb.539:                              ;   in Loop: Header=BB4_538 Depth=1
	global_load_b32 v0, v[8:9], off offset:20 scope:SCOPE_SYS
	s_wait_loadcnt 0x0
	global_inv scope:SCOPE_SYS
	v_and_b32_e32 v0, 1, v0
	s_branch .LBB4_535
.LBB4_540:
	global_load_b64 v[2:3], v[6:7], off
	s_and_saveexec_b32 s8, s3
	s_cbranch_execz .LBB4_544
; %bb.541:
	v_mov_b32_e32 v8, 0
	s_clause 0x2
	global_load_b64 v[0:1], v8, s[4:5] offset:40
	global_load_b64 v[11:12], v8, s[4:5] offset:24 scope:SCOPE_SYS
	global_load_b64 v[4:5], v8, s[4:5]
	s_wait_loadcnt 0x2
	v_readfirstlane_b32 s10, v0
	v_readfirstlane_b32 s11, v1
	s_add_nc_u64 s[12:13], s[10:11], 1
	s_wait_alu 0xfffe
	s_add_nc_u64 s[6:7], s[12:13], s[6:7]
	s_wait_alu 0xfffe
	s_cmp_eq_u64 s[6:7], 0
	s_cselect_b32 s7, s13, s7
	s_cselect_b32 s6, s12, s6
	s_wait_alu 0xfffe
	v_mov_b32_e32 v10, s7
	s_and_b64 s[10:11], s[6:7], s[10:11]
	v_mov_b32_e32 v9, s6
	s_wait_alu 0xfffe
	s_mul_u64 s[10:11], s[10:11], 24
	s_wait_loadcnt 0x0
	s_wait_alu 0xfffe
	v_add_co_u32 v0, vcc_lo, v4, s10
	s_wait_alu 0xfffd
	v_add_co_ci_u32_e64 v1, null, s11, v5, vcc_lo
	global_store_b64 v[0:1], v[11:12], off
	global_wb scope:SCOPE_SYS
	s_wait_storecnt 0x0
	global_atomic_cmpswap_b64 v[6:7], v8, v[9:12], s[4:5] offset:24 th:TH_ATOMIC_RETURN scope:SCOPE_SYS
	s_wait_loadcnt 0x0
	v_cmp_ne_u64_e32 vcc_lo, v[6:7], v[11:12]
	s_and_b32 exec_lo, exec_lo, vcc_lo
	s_cbranch_execz .LBB4_544
; %bb.542:
	s_mov_b32 s3, 0
.LBB4_543:                              ; =>This Inner Loop Header: Depth=1
	v_dual_mov_b32 v4, s6 :: v_dual_mov_b32 v5, s7
	s_sleep 1
	global_store_b64 v[0:1], v[6:7], off
	global_wb scope:SCOPE_SYS
	s_wait_storecnt 0x0
	global_atomic_cmpswap_b64 v[4:5], v8, v[4:7], s[4:5] offset:24 th:TH_ATOMIC_RETURN scope:SCOPE_SYS
	s_wait_loadcnt 0x0
	v_cmp_eq_u64_e32 vcc_lo, v[4:5], v[6:7]
	v_dual_mov_b32 v7, v5 :: v_dual_mov_b32 v6, v4
	s_wait_alu 0xfffe
	s_or_b32 s3, vcc_lo, s3
	s_wait_alu 0xfffe
	s_and_not1_b32 exec_lo, exec_lo, s3
	s_cbranch_execnz .LBB4_543
.LBB4_544:
	s_wait_alu 0xfffe
	s_or_b32 exec_lo, exec_lo, s8
.LBB4_545:
	v_readfirstlane_b32 s3, v33
	s_wait_loadcnt 0x0
	v_mov_b32_e32 v0, 0
	v_mov_b32_e32 v1, 0
	s_wait_alu 0xf1ff
	v_cmp_eq_u32_e64 s3, s3, v33
	s_and_saveexec_b32 s6, s3
	s_cbranch_execz .LBB4_551
; %bb.546:
	v_mov_b32_e32 v4, 0
	s_mov_b32 s7, exec_lo
	global_load_b64 v[7:8], v4, s[4:5] offset:24 scope:SCOPE_SYS
	s_wait_loadcnt 0x0
	global_inv scope:SCOPE_SYS
	s_clause 0x1
	global_load_b64 v[0:1], v4, s[4:5] offset:40
	global_load_b64 v[5:6], v4, s[4:5]
	s_wait_loadcnt 0x1
	v_and_b32_e32 v1, v1, v8
	v_and_b32_e32 v0, v0, v7
	s_delay_alu instid0(VALU_DEP_2) | instskip(NEXT) | instid1(VALU_DEP_2)
	v_mul_lo_u32 v1, 24, v1
	v_mul_lo_u32 v9, 0, v0
	v_mul_hi_u32 v10, 24, v0
	v_mul_lo_u32 v0, 24, v0
	s_delay_alu instid0(VALU_DEP_3) | instskip(SKIP_1) | instid1(VALU_DEP_2)
	v_add_nc_u32_e32 v1, v1, v9
	s_wait_loadcnt 0x0
	v_add_co_u32 v0, vcc_lo, v5, v0
	s_delay_alu instid0(VALU_DEP_2) | instskip(SKIP_1) | instid1(VALU_DEP_1)
	v_add_nc_u32_e32 v1, v1, v10
	s_wait_alu 0xfffd
	v_add_co_ci_u32_e64 v1, null, v6, v1, vcc_lo
	global_load_b64 v[5:6], v[0:1], off scope:SCOPE_SYS
	s_wait_loadcnt 0x0
	global_atomic_cmpswap_b64 v[0:1], v4, v[5:8], s[4:5] offset:24 th:TH_ATOMIC_RETURN scope:SCOPE_SYS
	s_wait_loadcnt 0x0
	global_inv scope:SCOPE_SYS
	v_cmpx_ne_u64_e64 v[0:1], v[7:8]
	s_cbranch_execz .LBB4_550
; %bb.547:
	s_mov_b32 s8, 0
.LBB4_548:                              ; =>This Inner Loop Header: Depth=1
	s_sleep 1
	s_clause 0x1
	global_load_b64 v[5:6], v4, s[4:5] offset:40
	global_load_b64 v[9:10], v4, s[4:5]
	v_dual_mov_b32 v8, v1 :: v_dual_mov_b32 v7, v0
	s_wait_loadcnt 0x1
	s_delay_alu instid0(VALU_DEP_1) | instskip(NEXT) | instid1(VALU_DEP_2)
	v_and_b32_e32 v0, v5, v7
	v_and_b32_e32 v5, v6, v8
	s_wait_loadcnt 0x0
	s_delay_alu instid0(VALU_DEP_2) | instskip(NEXT) | instid1(VALU_DEP_1)
	v_mad_co_u64_u32 v[0:1], null, v0, 24, v[9:10]
	v_mad_co_u64_u32 v[5:6], null, v5, 24, v[1:2]
	s_delay_alu instid0(VALU_DEP_1)
	v_mov_b32_e32 v1, v5
	global_load_b64 v[5:6], v[0:1], off scope:SCOPE_SYS
	s_wait_loadcnt 0x0
	global_atomic_cmpswap_b64 v[0:1], v4, v[5:8], s[4:5] offset:24 th:TH_ATOMIC_RETURN scope:SCOPE_SYS
	s_wait_loadcnt 0x0
	global_inv scope:SCOPE_SYS
	v_cmp_eq_u64_e32 vcc_lo, v[0:1], v[7:8]
	s_wait_alu 0xfffe
	s_or_b32 s8, vcc_lo, s8
	s_wait_alu 0xfffe
	s_and_not1_b32 exec_lo, exec_lo, s8
	s_cbranch_execnz .LBB4_548
; %bb.549:
	s_or_b32 exec_lo, exec_lo, s8
.LBB4_550:
	s_wait_alu 0xfffe
	s_or_b32 exec_lo, exec_lo, s7
.LBB4_551:
	s_wait_alu 0xfffe
	s_or_b32 exec_lo, exec_lo, s6
	v_readfirstlane_b32 s6, v0
	v_mov_b32_e32 v5, 0
	v_readfirstlane_b32 s7, v1
	s_mov_b32 s8, exec_lo
	s_clause 0x1
	global_load_b64 v[10:11], v5, s[4:5] offset:40
	global_load_b128 v[6:9], v5, s[4:5]
	s_wait_loadcnt 0x1
	s_wait_alu 0xf1ff
	v_and_b32_e32 v1, s7, v11
	v_and_b32_e32 v0, s6, v10
	s_delay_alu instid0(VALU_DEP_2) | instskip(NEXT) | instid1(VALU_DEP_2)
	v_mul_lo_u32 v4, 24, v1
	v_mul_lo_u32 v10, 0, v0
	v_mul_hi_u32 v11, 24, v0
	v_mul_lo_u32 v12, 24, v0
	s_delay_alu instid0(VALU_DEP_3) | instskip(SKIP_1) | instid1(VALU_DEP_2)
	v_add_nc_u32_e32 v4, v4, v10
	s_wait_loadcnt 0x0
	v_add_co_u32 v10, vcc_lo, v6, v12
	s_delay_alu instid0(VALU_DEP_2) | instskip(SKIP_1) | instid1(VALU_DEP_1)
	v_add_nc_u32_e32 v4, v4, v11
	s_wait_alu 0xfffd
	v_add_co_ci_u32_e64 v11, null, v7, v4, vcc_lo
	s_and_saveexec_b32 s9, s3
	s_cbranch_execz .LBB4_553
; %bb.552:
	s_wait_alu 0xfffe
	v_dual_mov_b32 v4, s8 :: v_dual_mov_b32 v15, 1
	v_dual_mov_b32 v14, 2 :: v_dual_mov_b32 v13, v5
	s_delay_alu instid0(VALU_DEP_2)
	v_mov_b32_e32 v12, v4
	global_store_b128 v[10:11], v[12:15], off offset:8
.LBB4_553:
	s_wait_alu 0xfffe
	s_or_b32 exec_lo, exec_lo, s9
	v_lshlrev_b64_e32 v[0:1], 12, v[0:1]
	s_mov_b32 s8, 0
	v_and_or_b32 v2, 0xffffff1f, v2, 32
	s_wait_alu 0xfffe
	s_mov_b32 s11, s8
	s_mov_b32 s9, s8
	;; [unrolled: 1-line block ×3, first 2 shown]
	v_add_co_u32 v0, vcc_lo, v8, v0
	s_wait_alu 0xfffd
	v_add_co_ci_u32_e64 v1, null, v9, v1, vcc_lo
	s_wait_alu 0xfffe
	v_dual_mov_b32 v4, 7 :: v_dual_mov_b32 v15, s11
	v_add_co_u32 v8, vcc_lo, v0, v32
	v_readfirstlane_b32 s12, v0
	v_readfirstlane_b32 s13, v1
	s_wait_alu 0xfffd
	v_add_co_ci_u32_e64 v9, null, 0, v1, vcc_lo
	v_dual_mov_b32 v14, s10 :: v_dual_mov_b32 v13, s9
	v_mov_b32_e32 v12, s8
	s_clause 0x3
	global_store_b128 v32, v[2:5], s[12:13]
	global_store_b128 v32, v[12:15], s[12:13] offset:16
	global_store_b128 v32, v[12:15], s[12:13] offset:32
	;; [unrolled: 1-line block ×3, first 2 shown]
	s_and_saveexec_b32 s8, s3
	s_cbranch_execz .LBB4_561
; %bb.554:
	v_mov_b32_e32 v12, 0
	s_mov_b32 s9, exec_lo
	s_clause 0x1
	global_load_b64 v[15:16], v12, s[4:5] offset:32 scope:SCOPE_SYS
	global_load_b64 v[0:1], v12, s[4:5] offset:40
	v_dual_mov_b32 v13, s6 :: v_dual_mov_b32 v14, s7
	s_wait_loadcnt 0x0
	v_and_b32_e32 v1, s7, v1
	v_and_b32_e32 v0, s6, v0
	s_delay_alu instid0(VALU_DEP_2) | instskip(NEXT) | instid1(VALU_DEP_2)
	v_mul_lo_u32 v1, 24, v1
	v_mul_lo_u32 v2, 0, v0
	v_mul_hi_u32 v3, 24, v0
	v_mul_lo_u32 v0, 24, v0
	s_delay_alu instid0(VALU_DEP_3) | instskip(NEXT) | instid1(VALU_DEP_2)
	v_add_nc_u32_e32 v1, v1, v2
	v_add_co_u32 v4, vcc_lo, v6, v0
	s_delay_alu instid0(VALU_DEP_2) | instskip(SKIP_1) | instid1(VALU_DEP_1)
	v_add_nc_u32_e32 v1, v1, v3
	s_wait_alu 0xfffd
	v_add_co_ci_u32_e64 v5, null, v7, v1, vcc_lo
	global_store_b64 v[4:5], v[15:16], off
	global_wb scope:SCOPE_SYS
	s_wait_storecnt 0x0
	global_atomic_cmpswap_b64 v[2:3], v12, v[13:16], s[4:5] offset:32 th:TH_ATOMIC_RETURN scope:SCOPE_SYS
	s_wait_loadcnt 0x0
	v_cmpx_ne_u64_e64 v[2:3], v[15:16]
	s_cbranch_execz .LBB4_557
; %bb.555:
	s_mov_b32 s10, 0
.LBB4_556:                              ; =>This Inner Loop Header: Depth=1
	v_dual_mov_b32 v0, s6 :: v_dual_mov_b32 v1, s7
	s_sleep 1
	global_store_b64 v[4:5], v[2:3], off
	global_wb scope:SCOPE_SYS
	s_wait_storecnt 0x0
	global_atomic_cmpswap_b64 v[0:1], v12, v[0:3], s[4:5] offset:32 th:TH_ATOMIC_RETURN scope:SCOPE_SYS
	s_wait_loadcnt 0x0
	v_cmp_eq_u64_e32 vcc_lo, v[0:1], v[2:3]
	v_dual_mov_b32 v3, v1 :: v_dual_mov_b32 v2, v0
	s_wait_alu 0xfffe
	s_or_b32 s10, vcc_lo, s10
	s_wait_alu 0xfffe
	s_and_not1_b32 exec_lo, exec_lo, s10
	s_cbranch_execnz .LBB4_556
.LBB4_557:
	s_wait_alu 0xfffe
	s_or_b32 exec_lo, exec_lo, s9
	v_mov_b32_e32 v3, 0
	s_mov_b32 s10, exec_lo
	s_mov_b32 s9, exec_lo
	s_wait_alu 0xfffe
	v_mbcnt_lo_u32_b32 v2, s10, 0
	global_load_b64 v[0:1], v3, s[4:5] offset:16
	v_cmpx_eq_u32_e32 0, v2
	s_cbranch_execz .LBB4_559
; %bb.558:
	s_bcnt1_i32_b32 s10, s10
	s_wait_alu 0xfffe
	v_mov_b32_e32 v2, s10
	global_wb scope:SCOPE_SYS
	s_wait_loadcnt 0x0
	s_wait_storecnt 0x0
	global_atomic_add_u64 v[0:1], v[2:3], off offset:8 scope:SCOPE_SYS
.LBB4_559:
	s_or_b32 exec_lo, exec_lo, s9
	s_wait_loadcnt 0x0
	global_load_b64 v[2:3], v[0:1], off offset:16
	s_wait_loadcnt 0x0
	v_cmp_eq_u64_e32 vcc_lo, 0, v[2:3]
	s_cbranch_vccnz .LBB4_561
; %bb.560:
	global_load_b32 v0, v[0:1], off offset:24
	v_mov_b32_e32 v1, 0
	s_wait_loadcnt 0x0
	v_readfirstlane_b32 s9, v0
	global_wb scope:SCOPE_SYS
	s_wait_storecnt 0x0
	global_store_b64 v[2:3], v[0:1], off scope:SCOPE_SYS
	s_and_b32 m0, s9, 0xffffff
	s_sendmsg sendmsg(MSG_INTERRUPT)
.LBB4_561:
	s_wait_alu 0xfffe
	s_or_b32 exec_lo, exec_lo, s8
	s_branch .LBB4_565
.LBB4_562:                              ;   in Loop: Header=BB4_565 Depth=1
	s_wait_alu 0xfffe
	s_or_b32 exec_lo, exec_lo, s8
	s_delay_alu instid0(VALU_DEP_1)
	v_readfirstlane_b32 s8, v0
	s_cmp_eq_u32 s8, 0
	s_cbranch_scc1 .LBB4_564
; %bb.563:                              ;   in Loop: Header=BB4_565 Depth=1
	s_sleep 1
	s_cbranch_execnz .LBB4_565
	s_branch .LBB4_567
.LBB4_564:
	s_branch .LBB4_567
.LBB4_565:                              ; =>This Inner Loop Header: Depth=1
	v_mov_b32_e32 v0, 1
	s_and_saveexec_b32 s8, s3
	s_cbranch_execz .LBB4_562
; %bb.566:                              ;   in Loop: Header=BB4_565 Depth=1
	global_load_b32 v0, v[10:11], off offset:20 scope:SCOPE_SYS
	s_wait_loadcnt 0x0
	global_inv scope:SCOPE_SYS
	v_and_b32_e32 v0, 1, v0
	s_branch .LBB4_562
.LBB4_567:
	global_load_b64 v[0:1], v[8:9], off
	s_and_saveexec_b32 s8, s3
	s_cbranch_execz .LBB4_571
; %bb.568:
	v_mov_b32_e32 v8, 0
	s_clause 0x2
	global_load_b64 v[2:3], v8, s[4:5] offset:40
	global_load_b64 v[11:12], v8, s[4:5] offset:24 scope:SCOPE_SYS
	global_load_b64 v[4:5], v8, s[4:5]
	s_wait_loadcnt 0x2
	v_readfirstlane_b32 s10, v2
	v_readfirstlane_b32 s11, v3
	s_add_nc_u64 s[12:13], s[10:11], 1
	s_wait_alu 0xfffe
	s_add_nc_u64 s[6:7], s[12:13], s[6:7]
	s_wait_alu 0xfffe
	s_cmp_eq_u64 s[6:7], 0
	s_cselect_b32 s7, s13, s7
	s_cselect_b32 s6, s12, s6
	s_wait_alu 0xfffe
	v_mov_b32_e32 v10, s7
	s_and_b64 s[10:11], s[6:7], s[10:11]
	v_mov_b32_e32 v9, s6
	s_wait_alu 0xfffe
	s_mul_u64 s[10:11], s[10:11], 24
	s_wait_loadcnt 0x0
	s_wait_alu 0xfffe
	v_add_co_u32 v6, vcc_lo, v4, s10
	s_wait_alu 0xfffd
	v_add_co_ci_u32_e64 v7, null, s11, v5, vcc_lo
	global_store_b64 v[6:7], v[11:12], off
	global_wb scope:SCOPE_SYS
	s_wait_storecnt 0x0
	global_atomic_cmpswap_b64 v[4:5], v8, v[9:12], s[4:5] offset:24 th:TH_ATOMIC_RETURN scope:SCOPE_SYS
	s_wait_loadcnt 0x0
	v_cmp_ne_u64_e32 vcc_lo, v[4:5], v[11:12]
	s_and_b32 exec_lo, exec_lo, vcc_lo
	s_cbranch_execz .LBB4_571
; %bb.569:
	s_mov_b32 s3, 0
.LBB4_570:                              ; =>This Inner Loop Header: Depth=1
	v_dual_mov_b32 v2, s6 :: v_dual_mov_b32 v3, s7
	s_sleep 1
	global_store_b64 v[6:7], v[4:5], off
	global_wb scope:SCOPE_SYS
	s_wait_storecnt 0x0
	global_atomic_cmpswap_b64 v[2:3], v8, v[2:5], s[4:5] offset:24 th:TH_ATOMIC_RETURN scope:SCOPE_SYS
	s_wait_loadcnt 0x0
	v_cmp_eq_u64_e32 vcc_lo, v[2:3], v[4:5]
	v_dual_mov_b32 v5, v3 :: v_dual_mov_b32 v4, v2
	s_wait_alu 0xfffe
	s_or_b32 s3, vcc_lo, s3
	s_wait_alu 0xfffe
	s_and_not1_b32 exec_lo, exec_lo, s3
	s_cbranch_execnz .LBB4_570
.LBB4_571:
	s_wait_alu 0xfffe
	s_or_b32 exec_lo, exec_lo, s8
	v_readfirstlane_b32 s3, v33
	v_mov_b32_e32 v8, 0
	v_mov_b32_e32 v9, 0
	s_wait_alu 0xf1ff
	s_delay_alu instid0(VALU_DEP_3)
	v_cmp_eq_u32_e64 s3, s3, v33
	s_and_saveexec_b32 s6, s3
	s_cbranch_execz .LBB4_577
; %bb.572:
	v_mov_b32_e32 v2, 0
	s_mov_b32 s7, exec_lo
	global_load_b64 v[5:6], v2, s[4:5] offset:24 scope:SCOPE_SYS
	s_wait_loadcnt 0x0
	global_inv scope:SCOPE_SYS
	s_clause 0x1
	global_load_b64 v[3:4], v2, s[4:5] offset:40
	global_load_b64 v[7:8], v2, s[4:5]
	s_wait_loadcnt 0x1
	v_and_b32_e32 v4, v4, v6
	v_and_b32_e32 v3, v3, v5
	s_delay_alu instid0(VALU_DEP_2) | instskip(NEXT) | instid1(VALU_DEP_2)
	v_mul_lo_u32 v4, 24, v4
	v_mul_lo_u32 v9, 0, v3
	v_mul_hi_u32 v10, 24, v3
	v_mul_lo_u32 v3, 24, v3
	s_delay_alu instid0(VALU_DEP_3) | instskip(SKIP_1) | instid1(VALU_DEP_2)
	v_add_nc_u32_e32 v4, v4, v9
	s_wait_loadcnt 0x0
	v_add_co_u32 v3, vcc_lo, v7, v3
	s_delay_alu instid0(VALU_DEP_2) | instskip(SKIP_1) | instid1(VALU_DEP_1)
	v_add_nc_u32_e32 v4, v4, v10
	s_wait_alu 0xfffd
	v_add_co_ci_u32_e64 v4, null, v8, v4, vcc_lo
	global_load_b64 v[3:4], v[3:4], off scope:SCOPE_SYS
	s_wait_loadcnt 0x0
	global_atomic_cmpswap_b64 v[8:9], v2, v[3:6], s[4:5] offset:24 th:TH_ATOMIC_RETURN scope:SCOPE_SYS
	s_wait_loadcnt 0x0
	global_inv scope:SCOPE_SYS
	v_cmpx_ne_u64_e64 v[8:9], v[5:6]
	s_cbranch_execz .LBB4_576
; %bb.573:
	s_mov_b32 s8, 0
.LBB4_574:                              ; =>This Inner Loop Header: Depth=1
	s_sleep 1
	s_clause 0x1
	global_load_b64 v[3:4], v2, s[4:5] offset:40
	global_load_b64 v[10:11], v2, s[4:5]
	v_dual_mov_b32 v5, v8 :: v_dual_mov_b32 v6, v9
	s_wait_loadcnt 0x1
	s_delay_alu instid0(VALU_DEP_1) | instskip(NEXT) | instid1(VALU_DEP_2)
	v_and_b32_e32 v3, v3, v5
	v_and_b32_e32 v4, v4, v6
	s_wait_loadcnt 0x0
	s_delay_alu instid0(VALU_DEP_2) | instskip(NEXT) | instid1(VALU_DEP_1)
	v_mad_co_u64_u32 v[7:8], null, v3, 24, v[10:11]
	v_mov_b32_e32 v3, v8
	s_delay_alu instid0(VALU_DEP_1) | instskip(NEXT) | instid1(VALU_DEP_1)
	v_mad_co_u64_u32 v[3:4], null, v4, 24, v[3:4]
	v_mov_b32_e32 v8, v3
	global_load_b64 v[3:4], v[7:8], off scope:SCOPE_SYS
	s_wait_loadcnt 0x0
	global_atomic_cmpswap_b64 v[8:9], v2, v[3:6], s[4:5] offset:24 th:TH_ATOMIC_RETURN scope:SCOPE_SYS
	s_wait_loadcnt 0x0
	global_inv scope:SCOPE_SYS
	v_cmp_eq_u64_e32 vcc_lo, v[8:9], v[5:6]
	s_wait_alu 0xfffe
	s_or_b32 s8, vcc_lo, s8
	s_wait_alu 0xfffe
	s_and_not1_b32 exec_lo, exec_lo, s8
	s_cbranch_execnz .LBB4_574
; %bb.575:
	s_or_b32 exec_lo, exec_lo, s8
.LBB4_576:
	s_wait_alu 0xfffe
	s_or_b32 exec_lo, exec_lo, s7
.LBB4_577:
	s_wait_alu 0xfffe
	s_or_b32 exec_lo, exec_lo, s6
	v_readfirstlane_b32 s6, v8
	v_mov_b32_e32 v3, 0
	v_readfirstlane_b32 s7, v9
	s_mov_b32 s8, exec_lo
	s_clause 0x1
	global_load_b64 v[10:11], v3, s[4:5] offset:40
	global_load_b128 v[4:7], v3, s[4:5]
	s_wait_loadcnt 0x1
	s_wait_alu 0xf1ff
	v_and_b32_e32 v11, s7, v11
	v_and_b32_e32 v10, s6, v10
	s_delay_alu instid0(VALU_DEP_2) | instskip(NEXT) | instid1(VALU_DEP_2)
	v_mul_lo_u32 v2, 24, v11
	v_mul_lo_u32 v8, 0, v10
	v_mul_hi_u32 v9, 24, v10
	v_mul_lo_u32 v12, 24, v10
	s_delay_alu instid0(VALU_DEP_3) | instskip(SKIP_1) | instid1(VALU_DEP_2)
	v_add_nc_u32_e32 v2, v2, v8
	s_wait_loadcnt 0x0
	v_add_co_u32 v8, vcc_lo, v4, v12
	s_delay_alu instid0(VALU_DEP_2) | instskip(SKIP_1) | instid1(VALU_DEP_1)
	v_add_nc_u32_e32 v2, v2, v9
	s_wait_alu 0xfffd
	v_add_co_ci_u32_e64 v9, null, v5, v2, vcc_lo
	s_and_saveexec_b32 s9, s3
	s_cbranch_execz .LBB4_579
; %bb.578:
	s_wait_alu 0xfffe
	v_dual_mov_b32 v2, s8 :: v_dual_mov_b32 v15, 1
	v_dual_mov_b32 v14, 2 :: v_dual_mov_b32 v13, v3
	s_delay_alu instid0(VALU_DEP_2)
	v_mov_b32_e32 v12, v2
	global_store_b128 v[8:9], v[12:15], off offset:8
.LBB4_579:
	s_wait_alu 0xfffe
	s_or_b32 exec_lo, exec_lo, s9
	v_lshlrev_b64_e32 v[10:11], 12, v[10:11]
	s_mov_b32 s8, 0
	v_cndmask_b32_e64 v2, -1, v31, s2
	s_wait_alu 0xfffe
	s_mov_b32 s11, s8
	s_mov_b32 s9, s8
	;; [unrolled: 1-line block ×3, first 2 shown]
	v_add_co_u32 v6, vcc_lo, v6, v10
	s_wait_alu 0xfffd
	v_add_co_ci_u32_e64 v7, null, v7, v11, vcc_lo
	v_and_or_b32 v0, 0xffffff1f, v0, 32
	s_delay_alu instid0(VALU_DEP_3) | instskip(SKIP_1) | instid1(VALU_DEP_4)
	v_add_co_u32 v10, vcc_lo, v6, v32
	v_readfirstlane_b32 s12, v6
	v_readfirstlane_b32 s13, v7
	s_wait_alu 0xfffe
	v_dual_mov_b32 v15, s11 :: v_dual_mov_b32 v14, s10
	s_wait_alu 0xfffd
	v_add_co_ci_u32_e64 v11, null, 0, v7, vcc_lo
	v_dual_mov_b32 v13, s9 :: v_dual_mov_b32 v12, s8
	s_clause 0x3
	global_store_b128 v32, v[0:3], s[12:13]
	global_store_b128 v32, v[12:15], s[12:13] offset:16
	global_store_b128 v32, v[12:15], s[12:13] offset:32
	;; [unrolled: 1-line block ×3, first 2 shown]
	s_and_saveexec_b32 s2, s3
	s_cbranch_execz .LBB4_587
; %bb.580:
	v_mov_b32_e32 v7, 0
	v_mov_b32_e32 v13, s7
	s_mov_b32 s8, exec_lo
	s_clause 0x1
	global_load_b64 v[14:15], v7, s[4:5] offset:32 scope:SCOPE_SYS
	global_load_b64 v[0:1], v7, s[4:5] offset:40
	s_wait_loadcnt 0x0
	v_dual_mov_b32 v12, s6 :: v_dual_and_b32 v1, s7, v1
	v_and_b32_e32 v0, s6, v0
	s_delay_alu instid0(VALU_DEP_2) | instskip(NEXT) | instid1(VALU_DEP_2)
	v_mul_lo_u32 v1, 24, v1
	v_mul_lo_u32 v3, 0, v0
	v_mul_hi_u32 v6, 24, v0
	v_mul_lo_u32 v0, 24, v0
	s_delay_alu instid0(VALU_DEP_3) | instskip(NEXT) | instid1(VALU_DEP_2)
	v_add_nc_u32_e32 v1, v1, v3
	v_add_co_u32 v0, vcc_lo, v4, v0
	s_delay_alu instid0(VALU_DEP_2) | instskip(SKIP_1) | instid1(VALU_DEP_1)
	v_add_nc_u32_e32 v1, v1, v6
	s_wait_alu 0xfffd
	v_add_co_ci_u32_e64 v1, null, v5, v1, vcc_lo
	global_store_b64 v[0:1], v[14:15], off
	global_wb scope:SCOPE_SYS
	s_wait_storecnt 0x0
	global_atomic_cmpswap_b64 v[5:6], v7, v[12:15], s[4:5] offset:32 th:TH_ATOMIC_RETURN scope:SCOPE_SYS
	s_wait_loadcnt 0x0
	v_cmpx_ne_u64_e64 v[5:6], v[14:15]
	s_cbranch_execz .LBB4_583
; %bb.581:
	s_mov_b32 s9, 0
.LBB4_582:                              ; =>This Inner Loop Header: Depth=1
	v_dual_mov_b32 v3, s6 :: v_dual_mov_b32 v4, s7
	s_sleep 1
	global_store_b64 v[0:1], v[5:6], off
	global_wb scope:SCOPE_SYS
	s_wait_storecnt 0x0
	global_atomic_cmpswap_b64 v[3:4], v7, v[3:6], s[4:5] offset:32 th:TH_ATOMIC_RETURN scope:SCOPE_SYS
	s_wait_loadcnt 0x0
	v_cmp_eq_u64_e32 vcc_lo, v[3:4], v[5:6]
	v_dual_mov_b32 v6, v4 :: v_dual_mov_b32 v5, v3
	s_wait_alu 0xfffe
	s_or_b32 s9, vcc_lo, s9
	s_wait_alu 0xfffe
	s_and_not1_b32 exec_lo, exec_lo, s9
	s_cbranch_execnz .LBB4_582
.LBB4_583:
	s_wait_alu 0xfffe
	s_or_b32 exec_lo, exec_lo, s8
	v_mov_b32_e32 v4, 0
	s_mov_b32 s9, exec_lo
	s_mov_b32 s8, exec_lo
	s_wait_alu 0xfffe
	v_mbcnt_lo_u32_b32 v3, s9, 0
	global_load_b64 v[0:1], v4, s[4:5] offset:16
	v_cmpx_eq_u32_e32 0, v3
	s_cbranch_execz .LBB4_585
; %bb.584:
	s_bcnt1_i32_b32 s9, s9
	s_wait_alu 0xfffe
	v_mov_b32_e32 v3, s9
	global_wb scope:SCOPE_SYS
	s_wait_loadcnt 0x0
	s_wait_storecnt 0x0
	global_atomic_add_u64 v[0:1], v[3:4], off offset:8 scope:SCOPE_SYS
.LBB4_585:
	s_or_b32 exec_lo, exec_lo, s8
	s_wait_loadcnt 0x0
	global_load_b64 v[3:4], v[0:1], off offset:16
	s_wait_loadcnt 0x0
	v_cmp_eq_u64_e32 vcc_lo, 0, v[3:4]
	s_cbranch_vccnz .LBB4_587
; %bb.586:
	global_load_b32 v0, v[0:1], off offset:24
	v_mov_b32_e32 v1, 0
	s_wait_loadcnt 0x0
	v_readfirstlane_b32 s8, v0
	global_wb scope:SCOPE_SYS
	s_wait_storecnt 0x0
	global_store_b64 v[3:4], v[0:1], off scope:SCOPE_SYS
	s_and_b32 m0, s8, 0xffffff
	s_sendmsg sendmsg(MSG_INTERRUPT)
.LBB4_587:
	s_wait_alu 0xfffe
	s_or_b32 exec_lo, exec_lo, s2
	s_branch .LBB4_591
.LBB4_588:                              ;   in Loop: Header=BB4_591 Depth=1
	s_wait_alu 0xfffe
	s_or_b32 exec_lo, exec_lo, s2
	s_delay_alu instid0(VALU_DEP_1)
	v_readfirstlane_b32 s2, v0
	s_cmp_eq_u32 s2, 0
	s_cbranch_scc1 .LBB4_590
; %bb.589:                              ;   in Loop: Header=BB4_591 Depth=1
	s_sleep 1
	s_cbranch_execnz .LBB4_591
	s_branch .LBB4_593
.LBB4_590:
	s_branch .LBB4_593
.LBB4_591:                              ; =>This Inner Loop Header: Depth=1
	v_mov_b32_e32 v0, 1
	s_and_saveexec_b32 s2, s3
	s_cbranch_execz .LBB4_588
; %bb.592:                              ;   in Loop: Header=BB4_591 Depth=1
	global_load_b32 v0, v[8:9], off offset:20 scope:SCOPE_SYS
	s_wait_loadcnt 0x0
	global_inv scope:SCOPE_SYS
	v_and_b32_e32 v0, 1, v0
	s_branch .LBB4_588
.LBB4_593:
	global_load_b64 v[3:4], v[10:11], off
	s_and_saveexec_b32 s8, s3
	s_cbranch_execz .LBB4_597
; %bb.594:
	v_mov_b32_e32 v9, 0
	s_clause 0x2
	global_load_b64 v[0:1], v9, s[4:5] offset:40
	global_load_b64 v[12:13], v9, s[4:5] offset:24 scope:SCOPE_SYS
	global_load_b64 v[5:6], v9, s[4:5]
	s_wait_loadcnt 0x2
	v_readfirstlane_b32 s10, v0
	v_readfirstlane_b32 s11, v1
	s_add_nc_u64 s[2:3], s[10:11], 1
	s_wait_alu 0xfffe
	s_add_nc_u64 s[6:7], s[2:3], s[6:7]
	s_wait_alu 0xfffe
	s_cmp_eq_u64 s[6:7], 0
	s_cselect_b32 s3, s3, s7
	s_cselect_b32 s2, s2, s6
	s_wait_alu 0xfffe
	v_mov_b32_e32 v11, s3
	s_and_b64 s[6:7], s[2:3], s[10:11]
	v_mov_b32_e32 v10, s2
	s_wait_alu 0xfffe
	s_mul_u64 s[6:7], s[6:7], 24
	s_wait_loadcnt 0x0
	s_wait_alu 0xfffe
	v_add_co_u32 v0, vcc_lo, v5, s6
	s_wait_alu 0xfffd
	v_add_co_ci_u32_e64 v1, null, s7, v6, vcc_lo
	global_store_b64 v[0:1], v[12:13], off
	global_wb scope:SCOPE_SYS
	s_wait_storecnt 0x0
	global_atomic_cmpswap_b64 v[7:8], v9, v[10:13], s[4:5] offset:24 th:TH_ATOMIC_RETURN scope:SCOPE_SYS
	s_wait_loadcnt 0x0
	v_cmp_ne_u64_e32 vcc_lo, v[7:8], v[12:13]
	s_and_b32 exec_lo, exec_lo, vcc_lo
	s_cbranch_execz .LBB4_597
; %bb.595:
	s_mov_b32 s6, 0
.LBB4_596:                              ; =>This Inner Loop Header: Depth=1
	v_dual_mov_b32 v5, s2 :: v_dual_mov_b32 v6, s3
	s_sleep 1
	global_store_b64 v[0:1], v[7:8], off
	global_wb scope:SCOPE_SYS
	s_wait_storecnt 0x0
	global_atomic_cmpswap_b64 v[5:6], v9, v[5:8], s[4:5] offset:24 th:TH_ATOMIC_RETURN scope:SCOPE_SYS
	s_wait_loadcnt 0x0
	v_cmp_eq_u64_e32 vcc_lo, v[5:6], v[7:8]
	v_dual_mov_b32 v8, v6 :: v_dual_mov_b32 v7, v5
	s_wait_alu 0xfffe
	s_or_b32 s6, vcc_lo, s6
	s_wait_alu 0xfffe
	s_and_not1_b32 exec_lo, exec_lo, s6
	s_cbranch_execnz .LBB4_596
.LBB4_597:
	s_wait_alu 0xfffe
	s_or_b32 exec_lo, exec_lo, s8
	v_readfirstlane_b32 s2, v33
	v_mov_b32_e32 v0, 0
	v_mov_b32_e32 v1, 0
	s_wait_alu 0xf1ff
	s_delay_alu instid0(VALU_DEP_3)
	v_cmp_eq_u32_e64 s2, s2, v33
	s_and_saveexec_b32 s3, s2
	s_cbranch_execz .LBB4_603
; %bb.598:
	v_mov_b32_e32 v5, 0
	s_mov_b32 s6, exec_lo
	global_load_b64 v[8:9], v5, s[4:5] offset:24 scope:SCOPE_SYS
	s_wait_loadcnt 0x0
	global_inv scope:SCOPE_SYS
	s_clause 0x1
	global_load_b64 v[0:1], v5, s[4:5] offset:40
	global_load_b64 v[6:7], v5, s[4:5]
	s_wait_loadcnt 0x1
	v_and_b32_e32 v1, v1, v9
	v_and_b32_e32 v0, v0, v8
	s_delay_alu instid0(VALU_DEP_2) | instskip(NEXT) | instid1(VALU_DEP_2)
	v_mul_lo_u32 v1, 24, v1
	v_mul_lo_u32 v10, 0, v0
	v_mul_hi_u32 v11, 24, v0
	v_mul_lo_u32 v0, 24, v0
	s_delay_alu instid0(VALU_DEP_3) | instskip(SKIP_1) | instid1(VALU_DEP_2)
	v_add_nc_u32_e32 v1, v1, v10
	s_wait_loadcnt 0x0
	v_add_co_u32 v0, vcc_lo, v6, v0
	s_delay_alu instid0(VALU_DEP_2) | instskip(SKIP_1) | instid1(VALU_DEP_1)
	v_add_nc_u32_e32 v1, v1, v11
	s_wait_alu 0xfffd
	v_add_co_ci_u32_e64 v1, null, v7, v1, vcc_lo
	global_load_b64 v[6:7], v[0:1], off scope:SCOPE_SYS
	s_wait_loadcnt 0x0
	global_atomic_cmpswap_b64 v[0:1], v5, v[6:9], s[4:5] offset:24 th:TH_ATOMIC_RETURN scope:SCOPE_SYS
	s_wait_loadcnt 0x0
	global_inv scope:SCOPE_SYS
	v_cmpx_ne_u64_e64 v[0:1], v[8:9]
	s_cbranch_execz .LBB4_602
; %bb.599:
	s_mov_b32 s7, 0
.LBB4_600:                              ; =>This Inner Loop Header: Depth=1
	s_sleep 1
	s_clause 0x1
	global_load_b64 v[6:7], v5, s[4:5] offset:40
	global_load_b64 v[10:11], v5, s[4:5]
	v_dual_mov_b32 v9, v1 :: v_dual_mov_b32 v8, v0
	s_wait_loadcnt 0x1
	s_delay_alu instid0(VALU_DEP_1) | instskip(NEXT) | instid1(VALU_DEP_2)
	v_and_b32_e32 v0, v6, v8
	v_and_b32_e32 v6, v7, v9
	s_wait_loadcnt 0x0
	s_delay_alu instid0(VALU_DEP_2) | instskip(NEXT) | instid1(VALU_DEP_1)
	v_mad_co_u64_u32 v[0:1], null, v0, 24, v[10:11]
	v_mad_co_u64_u32 v[6:7], null, v6, 24, v[1:2]
	s_delay_alu instid0(VALU_DEP_1)
	v_mov_b32_e32 v1, v6
	global_load_b64 v[6:7], v[0:1], off scope:SCOPE_SYS
	s_wait_loadcnt 0x0
	global_atomic_cmpswap_b64 v[0:1], v5, v[6:9], s[4:5] offset:24 th:TH_ATOMIC_RETURN scope:SCOPE_SYS
	s_wait_loadcnt 0x0
	global_inv scope:SCOPE_SYS
	v_cmp_eq_u64_e32 vcc_lo, v[0:1], v[8:9]
	s_wait_alu 0xfffe
	s_or_b32 s7, vcc_lo, s7
	s_wait_alu 0xfffe
	s_and_not1_b32 exec_lo, exec_lo, s7
	s_cbranch_execnz .LBB4_600
; %bb.601:
	s_or_b32 exec_lo, exec_lo, s7
.LBB4_602:
	s_wait_alu 0xfffe
	s_or_b32 exec_lo, exec_lo, s6
.LBB4_603:
	s_wait_alu 0xfffe
	s_or_b32 exec_lo, exec_lo, s3
	v_readfirstlane_b32 s6, v0
	v_mov_b32_e32 v6, 0
	v_readfirstlane_b32 s7, v1
	s_mov_b32 s3, exec_lo
	s_clause 0x1
	global_load_b64 v[11:12], v6, s[4:5] offset:40
	global_load_b128 v[7:10], v6, s[4:5]
	s_wait_loadcnt 0x1
	s_wait_alu 0xf1ff
	v_and_b32_e32 v12, s7, v12
	v_and_b32_e32 v11, s6, v11
	s_delay_alu instid0(VALU_DEP_2) | instskip(NEXT) | instid1(VALU_DEP_2)
	v_mul_lo_u32 v0, 24, v12
	v_mul_lo_u32 v1, 0, v11
	v_mul_hi_u32 v5, 24, v11
	v_mul_lo_u32 v13, 24, v11
	s_delay_alu instid0(VALU_DEP_3) | instskip(NEXT) | instid1(VALU_DEP_1)
	v_add_nc_u32_e32 v0, v0, v1
	v_add_nc_u32_e32 v1, v0, v5
	s_wait_loadcnt 0x0
	s_delay_alu instid0(VALU_DEP_3) | instskip(SKIP_1) | instid1(VALU_DEP_2)
	v_add_co_u32 v0, vcc_lo, v7, v13
	s_wait_alu 0xfffd
	v_add_co_ci_u32_e64 v1, null, v8, v1, vcc_lo
	s_and_saveexec_b32 s8, s2
	s_cbranch_execz .LBB4_605
; %bb.604:
	s_wait_alu 0xfffe
	v_dual_mov_b32 v5, s3 :: v_dual_mov_b32 v16, 1
	v_dual_mov_b32 v15, 2 :: v_dual_mov_b32 v14, v6
	s_delay_alu instid0(VALU_DEP_2)
	v_mov_b32_e32 v13, v5
	global_store_b128 v[0:1], v[13:16], off offset:8
.LBB4_605:
	s_wait_alu 0xfffe
	s_or_b32 exec_lo, exec_lo, s8
	v_lshlrev_b64_e32 v[11:12], 12, v[11:12]
	s_mov_b32 s8, 0
	v_lshrrev_b32_e32 v5, 3, v26
	s_wait_alu 0xfffe
	s_mov_b32 s11, s8
	s_mov_b32 s9, s8
	;; [unrolled: 1-line block ×3, first 2 shown]
	v_add_co_u32 v9, vcc_lo, v9, v11
	s_wait_alu 0xfffd
	v_add_co_ci_u32_e64 v11, null, v10, v12, vcc_lo
	v_and_or_b32 v3, 0xffffff1f, v3, 32
	s_delay_alu instid0(VALU_DEP_3) | instskip(SKIP_1) | instid1(VALU_DEP_4)
	v_add_co_u32 v10, vcc_lo, v9, v32
	v_readfirstlane_b32 s12, v9
	v_readfirstlane_b32 s13, v11
	s_wait_alu 0xfffe
	v_dual_mov_b32 v15, s11 :: v_dual_mov_b32 v14, s10
	s_wait_alu 0xfffd
	v_add_co_ci_u32_e64 v11, null, 0, v11, vcc_lo
	v_dual_mov_b32 v13, s9 :: v_dual_mov_b32 v12, s8
	s_clause 0x3
	global_store_b128 v32, v[3:6], s[12:13]
	global_store_b128 v32, v[12:15], s[12:13] offset:16
	global_store_b128 v32, v[12:15], s[12:13] offset:32
	;; [unrolled: 1-line block ×3, first 2 shown]
	s_and_saveexec_b32 s3, s2
	s_cbranch_execz .LBB4_613
; %bb.606:
	v_mov_b32_e32 v12, 0
	v_mov_b32_e32 v14, s7
	s_mov_b32 s8, exec_lo
	s_clause 0x1
	global_load_b64 v[15:16], v12, s[4:5] offset:32 scope:SCOPE_SYS
	global_load_b64 v[3:4], v12, s[4:5] offset:40
	s_wait_loadcnt 0x0
	v_dual_mov_b32 v13, s6 :: v_dual_and_b32 v4, s7, v4
	v_and_b32_e32 v3, s6, v3
	s_delay_alu instid0(VALU_DEP_2) | instskip(NEXT) | instid1(VALU_DEP_2)
	v_mul_lo_u32 v4, 24, v4
	v_mul_lo_u32 v6, 0, v3
	v_mul_hi_u32 v9, 24, v3
	v_mul_lo_u32 v3, 24, v3
	s_delay_alu instid0(VALU_DEP_3) | instskip(NEXT) | instid1(VALU_DEP_2)
	v_add_nc_u32_e32 v4, v4, v6
	v_add_co_u32 v3, vcc_lo, v7, v3
	s_delay_alu instid0(VALU_DEP_2) | instskip(SKIP_1) | instid1(VALU_DEP_1)
	v_add_nc_u32_e32 v4, v4, v9
	s_wait_alu 0xfffd
	v_add_co_ci_u32_e64 v4, null, v8, v4, vcc_lo
	global_store_b64 v[3:4], v[15:16], off
	global_wb scope:SCOPE_SYS
	s_wait_storecnt 0x0
	global_atomic_cmpswap_b64 v[8:9], v12, v[13:16], s[4:5] offset:32 th:TH_ATOMIC_RETURN scope:SCOPE_SYS
	s_wait_loadcnt 0x0
	v_cmpx_ne_u64_e64 v[8:9], v[15:16]
	s_cbranch_execz .LBB4_609
; %bb.607:
	s_mov_b32 s9, 0
.LBB4_608:                              ; =>This Inner Loop Header: Depth=1
	v_dual_mov_b32 v6, s6 :: v_dual_mov_b32 v7, s7
	s_sleep 1
	global_store_b64 v[3:4], v[8:9], off
	global_wb scope:SCOPE_SYS
	s_wait_storecnt 0x0
	global_atomic_cmpswap_b64 v[6:7], v12, v[6:9], s[4:5] offset:32 th:TH_ATOMIC_RETURN scope:SCOPE_SYS
	s_wait_loadcnt 0x0
	v_cmp_eq_u64_e32 vcc_lo, v[6:7], v[8:9]
	v_dual_mov_b32 v9, v7 :: v_dual_mov_b32 v8, v6
	s_wait_alu 0xfffe
	s_or_b32 s9, vcc_lo, s9
	s_wait_alu 0xfffe
	s_and_not1_b32 exec_lo, exec_lo, s9
	s_cbranch_execnz .LBB4_608
.LBB4_609:
	s_wait_alu 0xfffe
	s_or_b32 exec_lo, exec_lo, s8
	v_mov_b32_e32 v7, 0
	s_mov_b32 s9, exec_lo
	s_mov_b32 s8, exec_lo
	s_wait_alu 0xfffe
	v_mbcnt_lo_u32_b32 v6, s9, 0
	global_load_b64 v[3:4], v7, s[4:5] offset:16
	v_cmpx_eq_u32_e32 0, v6
	s_cbranch_execz .LBB4_611
; %bb.610:
	s_bcnt1_i32_b32 s9, s9
	s_wait_alu 0xfffe
	v_mov_b32_e32 v6, s9
	global_wb scope:SCOPE_SYS
	s_wait_loadcnt 0x0
	s_wait_storecnt 0x0
	global_atomic_add_u64 v[3:4], v[6:7], off offset:8 scope:SCOPE_SYS
.LBB4_611:
	s_or_b32 exec_lo, exec_lo, s8
	s_wait_loadcnt 0x0
	global_load_b64 v[6:7], v[3:4], off offset:16
	s_wait_loadcnt 0x0
	v_cmp_eq_u64_e32 vcc_lo, 0, v[6:7]
	s_cbranch_vccnz .LBB4_613
; %bb.612:
	global_load_b32 v3, v[3:4], off offset:24
	v_mov_b32_e32 v4, 0
	s_wait_loadcnt 0x0
	v_readfirstlane_b32 s8, v3
	global_wb scope:SCOPE_SYS
	s_wait_storecnt 0x0
	global_store_b64 v[6:7], v[3:4], off scope:SCOPE_SYS
	s_and_b32 m0, s8, 0xffffff
	s_sendmsg sendmsg(MSG_INTERRUPT)
.LBB4_613:
	s_wait_alu 0xfffe
	s_or_b32 exec_lo, exec_lo, s3
	s_branch .LBB4_617
.LBB4_614:                              ;   in Loop: Header=BB4_617 Depth=1
	s_wait_alu 0xfffe
	s_or_b32 exec_lo, exec_lo, s3
	s_delay_alu instid0(VALU_DEP_1)
	v_readfirstlane_b32 s3, v3
	s_cmp_eq_u32 s3, 0
	s_cbranch_scc1 .LBB4_616
; %bb.615:                              ;   in Loop: Header=BB4_617 Depth=1
	s_sleep 1
	s_cbranch_execnz .LBB4_617
	s_branch .LBB4_619
.LBB4_616:
	s_branch .LBB4_619
.LBB4_617:                              ; =>This Inner Loop Header: Depth=1
	v_mov_b32_e32 v3, 1
	s_and_saveexec_b32 s3, s2
	s_cbranch_execz .LBB4_614
; %bb.618:                              ;   in Loop: Header=BB4_617 Depth=1
	global_load_b32 v3, v[0:1], off offset:20 scope:SCOPE_SYS
	s_wait_loadcnt 0x0
	global_inv scope:SCOPE_SYS
	v_and_b32_e32 v3, 1, v3
	s_branch .LBB4_614
.LBB4_619:
	global_load_b64 v[6:7], v[10:11], off
	s_and_saveexec_b32 s8, s2
	s_cbranch_execz .LBB4_623
; %bb.620:
	v_mov_b32_e32 v3, 0
	s_clause 0x2
	global_load_b64 v[0:1], v3, s[4:5] offset:40
	global_load_b64 v[12:13], v3, s[4:5] offset:24 scope:SCOPE_SYS
	global_load_b64 v[8:9], v3, s[4:5]
	s_wait_loadcnt 0x2
	v_readfirstlane_b32 s10, v0
	v_readfirstlane_b32 s11, v1
	s_add_nc_u64 s[2:3], s[10:11], 1
	s_wait_alu 0xfffe
	s_add_nc_u64 s[6:7], s[2:3], s[6:7]
	s_wait_alu 0xfffe
	s_cmp_eq_u64 s[6:7], 0
	s_cselect_b32 s3, s3, s7
	s_cselect_b32 s2, s2, s6
	s_wait_alu 0xfffe
	v_mov_b32_e32 v11, s3
	s_and_b64 s[6:7], s[2:3], s[10:11]
	v_mov_b32_e32 v10, s2
	s_wait_alu 0xfffe
	s_mul_u64 s[6:7], s[6:7], 24
	s_wait_loadcnt 0x0
	s_wait_alu 0xfffe
	v_add_co_u32 v0, vcc_lo, v8, s6
	s_wait_alu 0xfffd
	v_add_co_ci_u32_e64 v1, null, s7, v9, vcc_lo
	global_store_b64 v[0:1], v[12:13], off
	global_wb scope:SCOPE_SYS
	s_wait_storecnt 0x0
	global_atomic_cmpswap_b64 v[10:11], v3, v[10:13], s[4:5] offset:24 th:TH_ATOMIC_RETURN scope:SCOPE_SYS
	s_wait_loadcnt 0x0
	v_cmp_ne_u64_e32 vcc_lo, v[10:11], v[12:13]
	s_and_b32 exec_lo, exec_lo, vcc_lo
	s_cbranch_execz .LBB4_623
; %bb.621:
	s_mov_b32 s6, 0
.LBB4_622:                              ; =>This Inner Loop Header: Depth=1
	v_dual_mov_b32 v8, s2 :: v_dual_mov_b32 v9, s3
	s_sleep 1
	global_store_b64 v[0:1], v[10:11], off
	global_wb scope:SCOPE_SYS
	s_wait_storecnt 0x0
	global_atomic_cmpswap_b64 v[8:9], v3, v[8:11], s[4:5] offset:24 th:TH_ATOMIC_RETURN scope:SCOPE_SYS
	s_wait_loadcnt 0x0
	v_cmp_eq_u64_e32 vcc_lo, v[8:9], v[10:11]
	v_dual_mov_b32 v11, v9 :: v_dual_mov_b32 v10, v8
	s_wait_alu 0xfffe
	s_or_b32 s6, vcc_lo, s6
	s_wait_alu 0xfffe
	s_and_not1_b32 exec_lo, exec_lo, s6
	s_cbranch_execnz .LBB4_622
.LBB4_623:
	s_wait_alu 0xfffe
	s_or_b32 exec_lo, exec_lo, s8
	v_readfirstlane_b32 s2, v33
	v_mov_b32_e32 v0, 0
	v_mov_b32_e32 v1, 0
	s_wait_alu 0xf1ff
	s_delay_alu instid0(VALU_DEP_3)
	v_cmp_eq_u32_e64 s2, s2, v33
	s_and_saveexec_b32 s3, s2
	s_cbranch_execz .LBB4_629
; %bb.624:
	v_mov_b32_e32 v3, 0
	s_mov_b32 s6, exec_lo
	global_load_b64 v[10:11], v3, s[4:5] offset:24 scope:SCOPE_SYS
	s_wait_loadcnt 0x0
	global_inv scope:SCOPE_SYS
	s_clause 0x1
	global_load_b64 v[0:1], v3, s[4:5] offset:40
	global_load_b64 v[8:9], v3, s[4:5]
	s_wait_loadcnt 0x1
	v_and_b32_e32 v1, v1, v11
	v_and_b32_e32 v0, v0, v10
	s_delay_alu instid0(VALU_DEP_2) | instskip(NEXT) | instid1(VALU_DEP_2)
	v_mul_lo_u32 v1, 24, v1
	v_mul_lo_u32 v4, 0, v0
	v_mul_hi_u32 v12, 24, v0
	v_mul_lo_u32 v0, 24, v0
	s_delay_alu instid0(VALU_DEP_3) | instskip(SKIP_1) | instid1(VALU_DEP_2)
	v_add_nc_u32_e32 v1, v1, v4
	s_wait_loadcnt 0x0
	v_add_co_u32 v0, vcc_lo, v8, v0
	s_delay_alu instid0(VALU_DEP_2) | instskip(SKIP_1) | instid1(VALU_DEP_1)
	v_add_nc_u32_e32 v1, v1, v12
	s_wait_alu 0xfffd
	v_add_co_ci_u32_e64 v1, null, v9, v1, vcc_lo
	global_load_b64 v[8:9], v[0:1], off scope:SCOPE_SYS
	s_wait_loadcnt 0x0
	global_atomic_cmpswap_b64 v[0:1], v3, v[8:11], s[4:5] offset:24 th:TH_ATOMIC_RETURN scope:SCOPE_SYS
	s_wait_loadcnt 0x0
	global_inv scope:SCOPE_SYS
	v_cmpx_ne_u64_e64 v[0:1], v[10:11]
	s_cbranch_execz .LBB4_628
; %bb.625:
	s_mov_b32 s7, 0
.LBB4_626:                              ; =>This Inner Loop Header: Depth=1
	s_sleep 1
	s_clause 0x1
	global_load_b64 v[8:9], v3, s[4:5] offset:40
	global_load_b64 v[12:13], v3, s[4:5]
	v_dual_mov_b32 v11, v1 :: v_dual_mov_b32 v10, v0
	s_wait_loadcnt 0x1
	s_delay_alu instid0(VALU_DEP_1) | instskip(NEXT) | instid1(VALU_DEP_2)
	v_and_b32_e32 v0, v8, v10
	v_and_b32_e32 v4, v9, v11
	s_wait_loadcnt 0x0
	s_delay_alu instid0(VALU_DEP_2) | instskip(NEXT) | instid1(VALU_DEP_1)
	v_mad_co_u64_u32 v[0:1], null, v0, 24, v[12:13]
	v_mad_co_u64_u32 v[8:9], null, v4, 24, v[1:2]
	s_delay_alu instid0(VALU_DEP_1)
	v_mov_b32_e32 v1, v8
	global_load_b64 v[8:9], v[0:1], off scope:SCOPE_SYS
	s_wait_loadcnt 0x0
	global_atomic_cmpswap_b64 v[0:1], v3, v[8:11], s[4:5] offset:24 th:TH_ATOMIC_RETURN scope:SCOPE_SYS
	s_wait_loadcnt 0x0
	global_inv scope:SCOPE_SYS
	v_cmp_eq_u64_e32 vcc_lo, v[0:1], v[10:11]
	s_wait_alu 0xfffe
	s_or_b32 s7, vcc_lo, s7
	s_wait_alu 0xfffe
	s_and_not1_b32 exec_lo, exec_lo, s7
	s_cbranch_execnz .LBB4_626
; %bb.627:
	s_or_b32 exec_lo, exec_lo, s7
.LBB4_628:
	s_wait_alu 0xfffe
	s_or_b32 exec_lo, exec_lo, s6
.LBB4_629:
	s_wait_alu 0xfffe
	s_or_b32 exec_lo, exec_lo, s3
	v_readfirstlane_b32 s7, v1
	v_mov_b32_e32 v9, 0
	v_readfirstlane_b32 s6, v0
	s_mov_b32 s3, exec_lo
	s_clause 0x1
	global_load_b64 v[3:4], v9, s[4:5] offset:40
	global_load_b128 v[10:13], v9, s[4:5]
	s_wait_loadcnt 0x1
	s_wait_alu 0xf1ff
	v_and_b32_e32 v4, s7, v4
	v_and_b32_e32 v3, s6, v3
	s_delay_alu instid0(VALU_DEP_2) | instskip(NEXT) | instid1(VALU_DEP_2)
	v_mul_lo_u32 v0, 24, v4
	v_mul_lo_u32 v1, 0, v3
	v_mul_hi_u32 v8, 24, v3
	v_mul_lo_u32 v14, 24, v3
	s_delay_alu instid0(VALU_DEP_3) | instskip(NEXT) | instid1(VALU_DEP_1)
	v_add_nc_u32_e32 v0, v0, v1
	v_add_nc_u32_e32 v1, v0, v8
	s_wait_loadcnt 0x0
	s_delay_alu instid0(VALU_DEP_3) | instskip(SKIP_1) | instid1(VALU_DEP_2)
	v_add_co_u32 v0, vcc_lo, v10, v14
	s_wait_alu 0xfffd
	v_add_co_ci_u32_e64 v1, null, v11, v1, vcc_lo
	s_and_saveexec_b32 s8, s2
	s_cbranch_execz .LBB4_631
; %bb.630:
	s_wait_alu 0xfffe
	v_dual_mov_b32 v8, s3 :: v_dual_mov_b32 v17, 1
	v_dual_mov_b32 v16, 2 :: v_dual_mov_b32 v15, v9
	s_delay_alu instid0(VALU_DEP_2)
	v_mov_b32_e32 v14, v8
	global_store_b128 v[0:1], v[14:17], off offset:8
.LBB4_631:
	s_wait_alu 0xfffe
	s_or_b32 exec_lo, exec_lo, s8
	v_lshlrev_b64_e32 v[3:4], 12, v[3:4]
	s_add_co_i32 s20, s20, 7
	s_mov_b32 s8, 0
	s_wait_alu 0xfffe
	s_lshr_b32 s3, s20, 3
	s_mov_b32 s11, s8
	s_mov_b32 s9, s8
	v_add_co_u32 v3, vcc_lo, v12, v3
	s_wait_alu 0xfffd
	v_add_co_ci_u32_e64 v4, null, v13, v4, vcc_lo
	s_mov_b32 s10, s8
	v_and_or_b32 v6, 0xffffff1d, v6, 34
	s_wait_alu 0xfffe
	v_dual_mov_b32 v8, s3 :: v_dual_mov_b32 v15, s11
	v_readfirstlane_b32 s12, v3
	v_readfirstlane_b32 s13, v4
	v_dual_mov_b32 v14, s10 :: v_dual_mov_b32 v13, s9
	v_mov_b32_e32 v12, s8
	s_clause 0x3
	global_store_b128 v32, v[6:9], s[12:13]
	global_store_b128 v32, v[12:15], s[12:13] offset:16
	global_store_b128 v32, v[12:15], s[12:13] offset:32
	;; [unrolled: 1-line block ×3, first 2 shown]
	s_and_saveexec_b32 s3, s2
	s_cbranch_execz .LBB4_639
; %bb.632:
	v_mov_b32_e32 v12, 0
	v_mov_b32_e32 v14, s7
	s_mov_b32 s8, exec_lo
	s_clause 0x1
	global_load_b64 v[15:16], v12, s[4:5] offset:32 scope:SCOPE_SYS
	global_load_b64 v[3:4], v12, s[4:5] offset:40
	s_wait_loadcnt 0x0
	v_dual_mov_b32 v13, s6 :: v_dual_and_b32 v4, s7, v4
	v_and_b32_e32 v3, s6, v3
	s_delay_alu instid0(VALU_DEP_2) | instskip(NEXT) | instid1(VALU_DEP_2)
	v_mul_lo_u32 v4, 24, v4
	v_mul_lo_u32 v6, 0, v3
	v_mul_hi_u32 v7, 24, v3
	v_mul_lo_u32 v3, 24, v3
	s_delay_alu instid0(VALU_DEP_3) | instskip(NEXT) | instid1(VALU_DEP_2)
	v_add_nc_u32_e32 v4, v4, v6
	v_add_co_u32 v3, vcc_lo, v10, v3
	s_delay_alu instid0(VALU_DEP_2) | instskip(SKIP_1) | instid1(VALU_DEP_1)
	v_add_nc_u32_e32 v4, v4, v7
	s_wait_alu 0xfffd
	v_add_co_ci_u32_e64 v4, null, v11, v4, vcc_lo
	global_store_b64 v[3:4], v[15:16], off
	global_wb scope:SCOPE_SYS
	s_wait_storecnt 0x0
	global_atomic_cmpswap_b64 v[8:9], v12, v[13:16], s[4:5] offset:32 th:TH_ATOMIC_RETURN scope:SCOPE_SYS
	s_wait_loadcnt 0x0
	v_cmpx_ne_u64_e64 v[8:9], v[15:16]
	s_cbranch_execz .LBB4_635
; %bb.633:
	s_mov_b32 s9, 0
.LBB4_634:                              ; =>This Inner Loop Header: Depth=1
	v_dual_mov_b32 v6, s6 :: v_dual_mov_b32 v7, s7
	s_sleep 1
	global_store_b64 v[3:4], v[8:9], off
	global_wb scope:SCOPE_SYS
	s_wait_storecnt 0x0
	global_atomic_cmpswap_b64 v[6:7], v12, v[6:9], s[4:5] offset:32 th:TH_ATOMIC_RETURN scope:SCOPE_SYS
	s_wait_loadcnt 0x0
	v_cmp_eq_u64_e32 vcc_lo, v[6:7], v[8:9]
	v_dual_mov_b32 v9, v7 :: v_dual_mov_b32 v8, v6
	s_wait_alu 0xfffe
	s_or_b32 s9, vcc_lo, s9
	s_wait_alu 0xfffe
	s_and_not1_b32 exec_lo, exec_lo, s9
	s_cbranch_execnz .LBB4_634
.LBB4_635:
	s_wait_alu 0xfffe
	s_or_b32 exec_lo, exec_lo, s8
	v_mov_b32_e32 v7, 0
	s_mov_b32 s9, exec_lo
	s_mov_b32 s8, exec_lo
	s_wait_alu 0xfffe
	v_mbcnt_lo_u32_b32 v6, s9, 0
	global_load_b64 v[3:4], v7, s[4:5] offset:16
	v_cmpx_eq_u32_e32 0, v6
	s_cbranch_execz .LBB4_637
; %bb.636:
	s_bcnt1_i32_b32 s9, s9
	s_wait_alu 0xfffe
	v_mov_b32_e32 v6, s9
	global_wb scope:SCOPE_SYS
	s_wait_loadcnt 0x0
	s_wait_storecnt 0x0
	global_atomic_add_u64 v[3:4], v[6:7], off offset:8 scope:SCOPE_SYS
.LBB4_637:
	s_or_b32 exec_lo, exec_lo, s8
	s_wait_loadcnt 0x0
	global_load_b64 v[6:7], v[3:4], off offset:16
	s_wait_loadcnt 0x0
	v_cmp_eq_u64_e32 vcc_lo, 0, v[6:7]
	s_cbranch_vccnz .LBB4_639
; %bb.638:
	global_load_b32 v3, v[3:4], off offset:24
	v_mov_b32_e32 v4, 0
	s_wait_loadcnt 0x0
	v_readfirstlane_b32 s8, v3
	global_wb scope:SCOPE_SYS
	s_wait_storecnt 0x0
	global_store_b64 v[6:7], v[3:4], off scope:SCOPE_SYS
	s_and_b32 m0, s8, 0xffffff
	s_sendmsg sendmsg(MSG_INTERRUPT)
.LBB4_639:
	s_wait_alu 0xfffe
	s_or_b32 exec_lo, exec_lo, s3
	s_branch .LBB4_643
.LBB4_640:                              ;   in Loop: Header=BB4_643 Depth=1
	s_wait_alu 0xfffe
	s_or_b32 exec_lo, exec_lo, s3
	s_delay_alu instid0(VALU_DEP_1)
	v_readfirstlane_b32 s3, v3
	s_cmp_eq_u32 s3, 0
	s_cbranch_scc1 .LBB4_642
; %bb.641:                              ;   in Loop: Header=BB4_643 Depth=1
	s_sleep 1
	s_cbranch_execnz .LBB4_643
	s_branch .LBB4_645
.LBB4_642:
	s_branch .LBB4_645
.LBB4_643:                              ; =>This Inner Loop Header: Depth=1
	v_mov_b32_e32 v3, 1
	s_and_saveexec_b32 s3, s2
	s_cbranch_execz .LBB4_640
; %bb.644:                              ;   in Loop: Header=BB4_643 Depth=1
	global_load_b32 v3, v[0:1], off offset:20 scope:SCOPE_SYS
	s_wait_loadcnt 0x0
	global_inv scope:SCOPE_SYS
	v_and_b32_e32 v3, 1, v3
	s_branch .LBB4_640
.LBB4_645:
	s_and_saveexec_b32 s8, s2
	s_cbranch_execz .LBB4_649
; %bb.646:
	v_mov_b32_e32 v3, 0
	s_clause 0x2
	global_load_b64 v[0:1], v3, s[4:5] offset:40
	global_load_b64 v[10:11], v3, s[4:5] offset:24 scope:SCOPE_SYS
	global_load_b64 v[6:7], v3, s[4:5]
	s_wait_loadcnt 0x2
	v_readfirstlane_b32 s10, v0
	v_readfirstlane_b32 s11, v1
	s_add_nc_u64 s[2:3], s[10:11], 1
	s_wait_alu 0xfffe
	s_add_nc_u64 s[6:7], s[2:3], s[6:7]
	s_wait_alu 0xfffe
	s_cmp_eq_u64 s[6:7], 0
	s_cselect_b32 s3, s3, s7
	s_cselect_b32 s2, s2, s6
	s_wait_alu 0xfffe
	v_mov_b32_e32 v9, s3
	s_and_b64 s[6:7], s[2:3], s[10:11]
	v_mov_b32_e32 v8, s2
	s_wait_alu 0xfffe
	s_mul_u64 s[6:7], s[6:7], 24
	s_wait_loadcnt 0x0
	s_wait_alu 0xfffe
	v_add_co_u32 v0, vcc_lo, v6, s6
	s_wait_alu 0xfffd
	v_add_co_ci_u32_e64 v1, null, s7, v7, vcc_lo
	global_store_b64 v[0:1], v[10:11], off
	global_wb scope:SCOPE_SYS
	s_wait_storecnt 0x0
	global_atomic_cmpswap_b64 v[8:9], v3, v[8:11], s[4:5] offset:24 th:TH_ATOMIC_RETURN scope:SCOPE_SYS
	s_wait_loadcnt 0x0
	v_cmp_ne_u64_e32 vcc_lo, v[8:9], v[10:11]
	s_and_b32 exec_lo, exec_lo, vcc_lo
	s_cbranch_execz .LBB4_649
; %bb.647:
	s_mov_b32 s6, 0
.LBB4_648:                              ; =>This Inner Loop Header: Depth=1
	v_dual_mov_b32 v6, s2 :: v_dual_mov_b32 v7, s3
	s_sleep 1
	global_store_b64 v[0:1], v[8:9], off
	global_wb scope:SCOPE_SYS
	s_wait_storecnt 0x0
	global_atomic_cmpswap_b64 v[6:7], v3, v[6:9], s[4:5] offset:24 th:TH_ATOMIC_RETURN scope:SCOPE_SYS
	s_wait_loadcnt 0x0
	v_cmp_eq_u64_e32 vcc_lo, v[6:7], v[8:9]
	v_dual_mov_b32 v9, v7 :: v_dual_mov_b32 v8, v6
	s_wait_alu 0xfffe
	s_or_b32 s6, vcc_lo, s6
	s_wait_alu 0xfffe
	s_and_not1_b32 exec_lo, exec_lo, s6
	s_cbranch_execnz .LBB4_648
.LBB4_649:
	s_wait_alu 0xfffe
	s_or_b32 exec_lo, exec_lo, s8
	s_load_b64 s[0:1], s[0:1], 0x0
	v_lshlrev_b32_e32 v0, 2, v5
	s_wait_kmcnt 0x0
	global_store_b32 v0, v2, s[0:1]
	s_endpgm
	.section	.rodata,"a",@progbits
	.p2align	6, 0x0
	.amdhsa_kernel _Z32kernel_cg_group_partition_staticILj8EEvPibS0_
		.amdhsa_group_segment_fixed_size 0
		.amdhsa_private_segment_fixed_size 0
		.amdhsa_kernarg_size 280
		.amdhsa_user_sgpr_count 2
		.amdhsa_user_sgpr_dispatch_ptr 0
		.amdhsa_user_sgpr_queue_ptr 0
		.amdhsa_user_sgpr_kernarg_segment_ptr 1
		.amdhsa_user_sgpr_dispatch_id 0
		.amdhsa_user_sgpr_private_segment_size 0
		.amdhsa_wavefront_size32 1
		.amdhsa_uses_dynamic_stack 0
		.amdhsa_enable_private_segment 0
		.amdhsa_system_sgpr_workgroup_id_x 1
		.amdhsa_system_sgpr_workgroup_id_y 0
		.amdhsa_system_sgpr_workgroup_id_z 0
		.amdhsa_system_sgpr_workgroup_info 0
		.amdhsa_system_vgpr_workitem_id 2
		.amdhsa_next_free_vgpr 37
		.amdhsa_next_free_sgpr 28
		.amdhsa_reserve_vcc 1
		.amdhsa_float_round_mode_32 0
		.amdhsa_float_round_mode_16_64 0
		.amdhsa_float_denorm_mode_32 3
		.amdhsa_float_denorm_mode_16_64 3
		.amdhsa_fp16_overflow 0
		.amdhsa_workgroup_processor_mode 1
		.amdhsa_memory_ordered 1
		.amdhsa_forward_progress 1
		.amdhsa_inst_pref_size 255
		.amdhsa_round_robin_scheduling 0
		.amdhsa_exception_fp_ieee_invalid_op 0
		.amdhsa_exception_fp_denorm_src 0
		.amdhsa_exception_fp_ieee_div_zero 0
		.amdhsa_exception_fp_ieee_overflow 0
		.amdhsa_exception_fp_ieee_underflow 0
		.amdhsa_exception_fp_ieee_inexact 0
		.amdhsa_exception_int_div_zero 0
	.end_amdhsa_kernel
	.section	.text._Z32kernel_cg_group_partition_staticILj8EEvPibS0_,"axG",@progbits,_Z32kernel_cg_group_partition_staticILj8EEvPibS0_,comdat
.Lfunc_end4:
	.size	_Z32kernel_cg_group_partition_staticILj8EEvPibS0_, .Lfunc_end4-_Z32kernel_cg_group_partition_staticILj8EEvPibS0_
                                        ; -- End function
	.set _Z32kernel_cg_group_partition_staticILj8EEvPibS0_.num_vgpr, 37
	.set _Z32kernel_cg_group_partition_staticILj8EEvPibS0_.num_agpr, 0
	.set _Z32kernel_cg_group_partition_staticILj8EEvPibS0_.numbered_sgpr, 28
	.set _Z32kernel_cg_group_partition_staticILj8EEvPibS0_.num_named_barrier, 0
	.set _Z32kernel_cg_group_partition_staticILj8EEvPibS0_.private_seg_size, 0
	.set _Z32kernel_cg_group_partition_staticILj8EEvPibS0_.uses_vcc, 1
	.set _Z32kernel_cg_group_partition_staticILj8EEvPibS0_.uses_flat_scratch, 0
	.set _Z32kernel_cg_group_partition_staticILj8EEvPibS0_.has_dyn_sized_stack, 0
	.set _Z32kernel_cg_group_partition_staticILj8EEvPibS0_.has_recursion, 0
	.set _Z32kernel_cg_group_partition_staticILj8EEvPibS0_.has_indirect_call, 0
	.section	.AMDGPU.csdata,"",@progbits
; Kernel info:
; codeLenInByte = 34320
; TotalNumSgprs: 30
; NumVgprs: 37
; ScratchSize: 0
; MemoryBound: 0
; FloatMode: 240
; IeeeMode: 1
; LDSByteSize: 0 bytes/workgroup (compile time only)
; SGPRBlocks: 0
; VGPRBlocks: 4
; NumSGPRsForWavesPerEU: 30
; NumVGPRsForWavesPerEU: 37
; Occupancy: 16
; WaveLimiterHint : 1
; COMPUTE_PGM_RSRC2:SCRATCH_EN: 0
; COMPUTE_PGM_RSRC2:USER_SGPR: 2
; COMPUTE_PGM_RSRC2:TRAP_HANDLER: 0
; COMPUTE_PGM_RSRC2:TGID_X_EN: 1
; COMPUTE_PGM_RSRC2:TGID_Y_EN: 0
; COMPUTE_PGM_RSRC2:TGID_Z_EN: 0
; COMPUTE_PGM_RSRC2:TIDIG_COMP_CNT: 2
	.section	.text._Z32kernel_cg_group_partition_staticILj16EEvPibS0_,"axG",@progbits,_Z32kernel_cg_group_partition_staticILj16EEvPibS0_,comdat
	.protected	_Z32kernel_cg_group_partition_staticILj16EEvPibS0_ ; -- Begin function _Z32kernel_cg_group_partition_staticILj16EEvPibS0_
	.globl	_Z32kernel_cg_group_partition_staticILj16EEvPibS0_
	.p2align	8
	.type	_Z32kernel_cg_group_partition_staticILj16EEvPibS0_,@function
_Z32kernel_cg_group_partition_staticILj16EEvPibS0_: ; @_Z32kernel_cg_group_partition_staticILj16EEvPibS0_
; %bb.0:
	s_mov_b64 s[2:3], src_shared_base
	s_clause 0x1
	s_load_b64 s[4:5], s[0:1], 0x24
	s_load_b32 s2, s[0:1], 0x8
	v_bfe_u32 v1, v0, 10, 10
	v_bfe_u32 v2, v0, 20, 10
	s_load_b64 s[6:7], s[0:1], 0x10
	v_and_b32_e32 v0, 0x3ff, v0
	s_wait_kmcnt 0x0
	s_lshr_b32 s8, s4, 16
	s_and_b32 s4, s4, 0xffff
	v_mad_u32_u24 v1, v2, s8, v1
	s_and_b32 s2, 1, s2
	s_and_b32 s5, s5, 0xffff
	s_cmp_lg_u32 0, -1
	s_mul_i32 s20, s8, s4
	v_mad_co_u64_u32 v[26:27], null, v1, s4, v[0:1]
	s_cselect_b32 s9, 0, 0
	s_cselect_b32 s3, s3, 0
	s_cmp_eq_u32 s2, 1
	s_mul_i32 s20, s20, s5
	s_cselect_b32 s21, s7, s3
	s_wait_alu 0xfffe
	s_cselect_b32 s22, s6, s9
	v_dual_mov_b32 v31, v26 :: v_dual_mov_b32 v34, v26
	s_cmp_lt_u32 s20, 2
	s_mov_b32 s3, 0
	s_cbranch_scc1 .LBB5_6
; %bb.1:
	v_ashrrev_i32_e32 v27, 31, v26
	v_mov_b32_e32 v34, v31
	s_mov_b32 s4, s20
	s_delay_alu instid0(VALU_DEP_2) | instskip(NEXT) | instid1(VALU_DEP_1)
	v_lshlrev_b64_e32 v[0:1], 2, v[26:27]
	v_add_co_u32 v0, vcc_lo, s22, v0
	s_delay_alu instid0(VALU_DEP_1)
	v_add_co_ci_u32_e64 v1, null, s21, v1, vcc_lo
.LBB5_2:                                ; =>This Inner Loop Header: Depth=1
	s_wait_alu 0xfffe
	s_lshr_b32 s2, s4, 1
	s_mov_b32 s5, exec_lo
	flat_store_b32 v[0:1], v34
	s_wait_storecnt_dscnt 0x0
	s_barrier_signal -1
	s_barrier_wait -1
	global_inv scope:SCOPE_SE
	s_wait_alu 0xfffe
	v_cmpx_gt_i32_e64 s2, v26
	s_cbranch_execz .LBB5_4
; %bb.3:                                ;   in Loop: Header=BB5_2 Depth=1
	s_lshl_b64 s[6:7], s[2:3], 2
	s_wait_alu 0xfffe
	v_add_co_u32 v2, vcc_lo, v0, s6
	s_wait_alu 0xfffd
	v_add_co_ci_u32_e64 v3, null, s7, v1, vcc_lo
	flat_load_b32 v2, v[2:3]
	s_wait_loadcnt_dscnt 0x0
	v_add_nc_u32_e32 v34, v2, v34
.LBB5_4:                                ;   in Loop: Header=BB5_2 Depth=1
	s_wait_alu 0xfffe
	s_or_b32 exec_lo, exec_lo, s5
	s_cmp_gt_u32 s4, 3
	s_wait_loadcnt 0x0
	s_barrier_signal -1
	s_barrier_wait -1
	global_inv scope:SCOPE_SE
	s_cbranch_scc0 .LBB5_6
; %bb.5:                                ;   in Loop: Header=BB5_2 Depth=1
	s_mov_b32 s4, s2
	s_branch .LBB5_2
.LBB5_6:
	v_cmp_eq_u32_e64 s2, 0, v26
	s_add_nc_u64 s[4:5], s[0:1], 24
	s_and_saveexec_b32 s23, s2
	s_cbranch_execz .LBB5_400
; %bb.7:
	s_load_b64 s[6:7], s[4:5], 0x50
	v_mbcnt_lo_u32_b32 v33, -1, 0
	v_mov_b32_e32 v6, 0
	v_mov_b32_e32 v7, 0
	s_delay_alu instid0(VALU_DEP_3) | instskip(SKIP_1) | instid1(VALU_DEP_1)
	v_readfirstlane_b32 s3, v33
	s_wait_alu 0xf1ff
	v_cmp_eq_u32_e64 s3, s3, v33
	s_and_saveexec_b32 s8, s3
	s_cbranch_execz .LBB5_13
; %bb.8:
	v_mov_b32_e32 v0, 0
	s_mov_b32 s9, exec_lo
	s_wait_kmcnt 0x0
	global_load_b64 v[3:4], v0, s[6:7] offset:24 scope:SCOPE_SYS
	s_wait_loadcnt 0x0
	global_inv scope:SCOPE_SYS
	s_clause 0x1
	global_load_b64 v[1:2], v0, s[6:7] offset:40
	global_load_b64 v[5:6], v0, s[6:7]
	s_wait_loadcnt 0x1
	v_and_b32_e32 v2, v2, v4
	v_and_b32_e32 v1, v1, v3
	s_delay_alu instid0(VALU_DEP_2) | instskip(NEXT) | instid1(VALU_DEP_2)
	v_mul_lo_u32 v2, 24, v2
	v_mul_lo_u32 v7, 0, v1
	v_mul_hi_u32 v8, 24, v1
	v_mul_lo_u32 v1, 24, v1
	s_delay_alu instid0(VALU_DEP_3) | instskip(SKIP_1) | instid1(VALU_DEP_2)
	v_add_nc_u32_e32 v2, v2, v7
	s_wait_loadcnt 0x0
	v_add_co_u32 v1, vcc_lo, v5, v1
	s_delay_alu instid0(VALU_DEP_2) | instskip(SKIP_1) | instid1(VALU_DEP_1)
	v_add_nc_u32_e32 v2, v2, v8
	s_wait_alu 0xfffd
	v_add_co_ci_u32_e64 v2, null, v6, v2, vcc_lo
	global_load_b64 v[1:2], v[1:2], off scope:SCOPE_SYS
	s_wait_loadcnt 0x0
	global_atomic_cmpswap_b64 v[6:7], v0, v[1:4], s[6:7] offset:24 th:TH_ATOMIC_RETURN scope:SCOPE_SYS
	s_wait_loadcnt 0x0
	global_inv scope:SCOPE_SYS
	v_cmpx_ne_u64_e64 v[6:7], v[3:4]
	s_cbranch_execz .LBB5_12
; %bb.9:
	s_mov_b32 s10, 0
.LBB5_10:                               ; =>This Inner Loop Header: Depth=1
	s_sleep 1
	s_clause 0x1
	global_load_b64 v[1:2], v0, s[6:7] offset:40
	global_load_b64 v[8:9], v0, s[6:7]
	v_dual_mov_b32 v3, v6 :: v_dual_mov_b32 v4, v7
	s_wait_loadcnt 0x1
	s_delay_alu instid0(VALU_DEP_1) | instskip(NEXT) | instid1(VALU_DEP_2)
	v_and_b32_e32 v1, v1, v3
	v_and_b32_e32 v2, v2, v4
	s_wait_loadcnt 0x0
	s_delay_alu instid0(VALU_DEP_2) | instskip(NEXT) | instid1(VALU_DEP_1)
	v_mad_co_u64_u32 v[5:6], null, v1, 24, v[8:9]
	v_mov_b32_e32 v1, v6
	s_delay_alu instid0(VALU_DEP_1) | instskip(NEXT) | instid1(VALU_DEP_1)
	v_mad_co_u64_u32 v[1:2], null, v2, 24, v[1:2]
	v_mov_b32_e32 v6, v1
	global_load_b64 v[1:2], v[5:6], off scope:SCOPE_SYS
	s_wait_loadcnt 0x0
	global_atomic_cmpswap_b64 v[6:7], v0, v[1:4], s[6:7] offset:24 th:TH_ATOMIC_RETURN scope:SCOPE_SYS
	s_wait_loadcnt 0x0
	global_inv scope:SCOPE_SYS
	v_cmp_eq_u64_e32 vcc_lo, v[6:7], v[3:4]
	s_or_b32 s10, vcc_lo, s10
	s_delay_alu instid0(SALU_CYCLE_1)
	s_and_not1_b32 exec_lo, exec_lo, s10
	s_cbranch_execnz .LBB5_10
; %bb.11:
	s_or_b32 exec_lo, exec_lo, s10
.LBB5_12:
	s_wait_alu 0xfffe
	s_or_b32 exec_lo, exec_lo, s9
.LBB5_13:
	s_wait_alu 0xfffe
	s_or_b32 exec_lo, exec_lo, s8
	v_readfirstlane_b32 s8, v6
	v_mov_b32_e32 v5, 0
	v_readfirstlane_b32 s9, v7
	s_mov_b32 s10, exec_lo
	s_wait_kmcnt 0x0
	s_clause 0x1
	global_load_b64 v[8:9], v5, s[6:7] offset:40
	global_load_b128 v[0:3], v5, s[6:7]
	s_wait_loadcnt 0x1
	s_wait_alu 0xf1ff
	v_and_b32_e32 v11, s9, v9
	v_and_b32_e32 v10, s8, v8
	s_delay_alu instid0(VALU_DEP_2) | instskip(NEXT) | instid1(VALU_DEP_2)
	v_mul_lo_u32 v4, 24, v11
	v_mul_lo_u32 v6, 0, v10
	v_mul_hi_u32 v7, 24, v10
	v_mul_lo_u32 v8, 24, v10
	s_delay_alu instid0(VALU_DEP_3) | instskip(SKIP_1) | instid1(VALU_DEP_2)
	v_add_nc_u32_e32 v4, v4, v6
	s_wait_loadcnt 0x0
	v_add_co_u32 v8, vcc_lo, v0, v8
	s_delay_alu instid0(VALU_DEP_2) | instskip(SKIP_1) | instid1(VALU_DEP_1)
	v_add_nc_u32_e32 v4, v4, v7
	s_wait_alu 0xfffd
	v_add_co_ci_u32_e64 v9, null, v1, v4, vcc_lo
	s_and_saveexec_b32 s11, s3
	s_cbranch_execz .LBB5_15
; %bb.14:
	v_dual_mov_b32 v4, s10 :: v_dual_mov_b32 v7, 1
	v_mov_b32_e32 v6, 2
	global_store_b128 v[8:9], v[4:7], off offset:8
.LBB5_15:
	s_or_b32 exec_lo, exec_lo, s11
	v_lshlrev_b64_e32 v[10:11], 12, v[10:11]
	v_dual_mov_b32 v7, v5 :: v_dual_lshlrev_b32 v32, 6, v33
	s_mov_b32 s12, 0
	s_delay_alu instid0(SALU_CYCLE_1) | instskip(NEXT) | instid1(VALU_DEP_2)
	s_mov_b32 s13, s12
	v_add_co_u32 v2, vcc_lo, v2, v10
	s_wait_alu 0xfffd
	v_add_co_ci_u32_e64 v3, null, v3, v11, vcc_lo
	s_mov_b32 s14, s12
	v_add_co_u32 v10, vcc_lo, v2, v32
	s_mov_b32 s15, s12
	v_mov_b32_e32 v4, 33
	v_mov_b32_e32 v6, v5
	v_readfirstlane_b32 s10, v2
	v_readfirstlane_b32 s11, v3
	v_mov_b32_e32 v12, s12
	s_wait_alu 0xfffd
	v_add_co_ci_u32_e64 v11, null, 0, v3, vcc_lo
	v_dual_mov_b32 v13, s13 :: v_dual_mov_b32 v14, s14
	v_mov_b32_e32 v15, s15
	s_clause 0x3
	global_store_b128 v32, v[4:7], s[10:11]
	global_store_b128 v32, v[12:15], s[10:11] offset:16
	global_store_b128 v32, v[12:15], s[10:11] offset:32
	;; [unrolled: 1-line block ×3, first 2 shown]
	s_and_saveexec_b32 s10, s3
	s_cbranch_execz .LBB5_22
; %bb.16:
	v_mov_b32_e32 v6, 0
	s_mov_b32 s11, exec_lo
	s_clause 0x1
	global_load_b64 v[14:15], v6, s[6:7] offset:32 scope:SCOPE_SYS
	global_load_b64 v[2:3], v6, s[6:7] offset:40
	v_dual_mov_b32 v13, s9 :: v_dual_mov_b32 v12, s8
	s_wait_loadcnt 0x0
	v_and_b32_e32 v3, s9, v3
	v_and_b32_e32 v2, s8, v2
	s_delay_alu instid0(VALU_DEP_2) | instskip(NEXT) | instid1(VALU_DEP_2)
	v_mul_lo_u32 v3, 24, v3
	v_mul_lo_u32 v4, 0, v2
	v_mul_hi_u32 v5, 24, v2
	v_mul_lo_u32 v2, 24, v2
	s_delay_alu instid0(VALU_DEP_3) | instskip(NEXT) | instid1(VALU_DEP_2)
	v_add_nc_u32_e32 v3, v3, v4
	v_add_co_u32 v4, vcc_lo, v0, v2
	s_delay_alu instid0(VALU_DEP_2) | instskip(SKIP_1) | instid1(VALU_DEP_1)
	v_add_nc_u32_e32 v3, v3, v5
	s_wait_alu 0xfffd
	v_add_co_ci_u32_e64 v5, null, v1, v3, vcc_lo
	global_store_b64 v[4:5], v[14:15], off
	global_wb scope:SCOPE_SYS
	s_wait_storecnt 0x0
	global_atomic_cmpswap_b64 v[2:3], v6, v[12:15], s[6:7] offset:32 th:TH_ATOMIC_RETURN scope:SCOPE_SYS
	s_wait_loadcnt 0x0
	v_cmpx_ne_u64_e64 v[2:3], v[14:15]
	s_cbranch_execz .LBB5_18
.LBB5_17:                               ; =>This Inner Loop Header: Depth=1
	v_dual_mov_b32 v0, s8 :: v_dual_mov_b32 v1, s9
	s_sleep 1
	global_store_b64 v[4:5], v[2:3], off
	global_wb scope:SCOPE_SYS
	s_wait_storecnt 0x0
	global_atomic_cmpswap_b64 v[0:1], v6, v[0:3], s[6:7] offset:32 th:TH_ATOMIC_RETURN scope:SCOPE_SYS
	s_wait_loadcnt 0x0
	v_cmp_eq_u64_e32 vcc_lo, v[0:1], v[2:3]
	v_dual_mov_b32 v3, v1 :: v_dual_mov_b32 v2, v0
	s_or_b32 s12, vcc_lo, s12
	s_wait_alu 0xfffe
	s_and_not1_b32 exec_lo, exec_lo, s12
	s_cbranch_execnz .LBB5_17
.LBB5_18:
	s_wait_alu 0xfffe
	s_or_b32 exec_lo, exec_lo, s11
	v_mov_b32_e32 v3, 0
	s_mov_b32 s12, exec_lo
	s_mov_b32 s11, exec_lo
	s_wait_alu 0xfffe
	v_mbcnt_lo_u32_b32 v2, s12, 0
	global_load_b64 v[0:1], v3, s[6:7] offset:16
	v_cmpx_eq_u32_e32 0, v2
	s_cbranch_execz .LBB5_20
; %bb.19:
	s_bcnt1_i32_b32 s12, s12
	s_wait_alu 0xfffe
	v_mov_b32_e32 v2, s12
	global_wb scope:SCOPE_SYS
	s_wait_loadcnt 0x0
	s_wait_storecnt 0x0
	global_atomic_add_u64 v[0:1], v[2:3], off offset:8 scope:SCOPE_SYS
.LBB5_20:
	s_or_b32 exec_lo, exec_lo, s11
	s_wait_loadcnt 0x0
	global_load_b64 v[2:3], v[0:1], off offset:16
	s_wait_loadcnt 0x0
	v_cmp_eq_u64_e32 vcc_lo, 0, v[2:3]
	s_cbranch_vccnz .LBB5_22
; %bb.21:
	global_load_b32 v0, v[0:1], off offset:24
	v_mov_b32_e32 v1, 0
	s_wait_loadcnt 0x0
	v_readfirstlane_b32 s11, v0
	global_wb scope:SCOPE_SYS
	s_wait_storecnt 0x0
	global_store_b64 v[2:3], v[0:1], off scope:SCOPE_SYS
	s_and_b32 m0, s11, 0xffffff
	s_sendmsg sendmsg(MSG_INTERRUPT)
.LBB5_22:
	s_wait_alu 0xfffe
	s_or_b32 exec_lo, exec_lo, s10
	s_branch .LBB5_26
.LBB5_23:                               ;   in Loop: Header=BB5_26 Depth=1
	s_wait_alu 0xfffe
	s_or_b32 exec_lo, exec_lo, s10
	s_delay_alu instid0(VALU_DEP_1)
	v_readfirstlane_b32 s10, v0
	s_cmp_eq_u32 s10, 0
	s_cbranch_scc1 .LBB5_25
; %bb.24:                               ;   in Loop: Header=BB5_26 Depth=1
	s_sleep 1
	s_cbranch_execnz .LBB5_26
	s_branch .LBB5_28
.LBB5_25:
	s_branch .LBB5_28
.LBB5_26:                               ; =>This Inner Loop Header: Depth=1
	v_mov_b32_e32 v0, 1
	s_and_saveexec_b32 s10, s3
	s_cbranch_execz .LBB5_23
; %bb.27:                               ;   in Loop: Header=BB5_26 Depth=1
	global_load_b32 v0, v[8:9], off offset:20 scope:SCOPE_SYS
	s_wait_loadcnt 0x0
	global_inv scope:SCOPE_SYS
	v_and_b32_e32 v0, 1, v0
	s_branch .LBB5_23
.LBB5_28:
	global_load_b64 v[0:1], v[10:11], off
	s_and_saveexec_b32 s10, s3
	s_cbranch_execz .LBB5_32
; %bb.29:
	v_mov_b32_e32 v8, 0
	s_clause 0x2
	global_load_b64 v[2:3], v8, s[6:7] offset:40
	global_load_b64 v[11:12], v8, s[6:7] offset:24 scope:SCOPE_SYS
	global_load_b64 v[4:5], v8, s[6:7]
	s_wait_loadcnt 0x2
	v_readfirstlane_b32 s12, v2
	v_readfirstlane_b32 s13, v3
	s_add_nc_u64 s[14:15], s[12:13], 1
	s_wait_alu 0xfffe
	s_add_nc_u64 s[8:9], s[14:15], s[8:9]
	s_wait_alu 0xfffe
	s_cmp_eq_u64 s[8:9], 0
	s_cselect_b32 s9, s15, s9
	s_cselect_b32 s8, s14, s8
	s_wait_alu 0xfffe
	v_mov_b32_e32 v10, s9
	s_and_b64 s[12:13], s[8:9], s[12:13]
	v_mov_b32_e32 v9, s8
	s_wait_alu 0xfffe
	s_mul_u64 s[12:13], s[12:13], 24
	s_wait_loadcnt 0x0
	s_wait_alu 0xfffe
	v_add_co_u32 v6, vcc_lo, v4, s12
	s_wait_alu 0xfffd
	v_add_co_ci_u32_e64 v7, null, s13, v5, vcc_lo
	global_store_b64 v[6:7], v[11:12], off
	global_wb scope:SCOPE_SYS
	s_wait_storecnt 0x0
	global_atomic_cmpswap_b64 v[4:5], v8, v[9:12], s[6:7] offset:24 th:TH_ATOMIC_RETURN scope:SCOPE_SYS
	s_wait_loadcnt 0x0
	v_cmp_ne_u64_e32 vcc_lo, v[4:5], v[11:12]
	s_and_b32 exec_lo, exec_lo, vcc_lo
	s_cbranch_execz .LBB5_32
; %bb.30:
	s_mov_b32 s3, 0
.LBB5_31:                               ; =>This Inner Loop Header: Depth=1
	v_dual_mov_b32 v2, s8 :: v_dual_mov_b32 v3, s9
	s_sleep 1
	global_store_b64 v[6:7], v[4:5], off
	global_wb scope:SCOPE_SYS
	s_wait_storecnt 0x0
	global_atomic_cmpswap_b64 v[2:3], v8, v[2:5], s[6:7] offset:24 th:TH_ATOMIC_RETURN scope:SCOPE_SYS
	s_wait_loadcnt 0x0
	v_cmp_eq_u64_e32 vcc_lo, v[2:3], v[4:5]
	v_dual_mov_b32 v5, v3 :: v_dual_mov_b32 v4, v2
	s_wait_alu 0xfffe
	s_or_b32 s3, vcc_lo, s3
	s_wait_alu 0xfffe
	s_and_not1_b32 exec_lo, exec_lo, s3
	s_cbranch_execnz .LBB5_31
.LBB5_32:
	s_wait_alu 0xfffe
	s_or_b32 exec_lo, exec_lo, s10
	s_getpc_b64 s[8:9]
	s_wait_alu 0xfffe
	s_sext_i32_i16 s9, s9
	s_add_co_u32 s8, s8, .str.8@rel32@lo+12
	s_wait_alu 0xfffe
	s_add_co_ci_u32 s9, s9, .str.8@rel32@hi+24
	s_wait_alu 0xfffe
	s_cmp_lg_u64 s[8:9], 0
	s_cbranch_scc0 .LBB5_111
; %bb.33:
	s_wait_loadcnt 0x0
	v_dual_mov_b32 v8, 2 :: v_dual_and_b32 v35, 2, v0
	v_dual_mov_b32 v7, 0 :: v_dual_and_b32 v2, -3, v0
	v_mov_b32_e32 v3, v1
	v_mov_b32_e32 v9, 1
	s_mov_b64 s[10:11], 0x4d
	s_branch .LBB5_35
.LBB5_34:                               ;   in Loop: Header=BB5_35 Depth=1
	s_wait_alu 0xfffe
	s_or_b32 exec_lo, exec_lo, s16
	s_sub_nc_u64 s[10:11], s[10:11], s[12:13]
	s_add_nc_u64 s[8:9], s[8:9], s[12:13]
	s_wait_alu 0xfffe
	s_cmp_lg_u64 s[10:11], 0
	s_cbranch_scc0 .LBB5_110
.LBB5_35:                               ; =>This Loop Header: Depth=1
                                        ;     Child Loop BB5_38 Depth 2
                                        ;     Child Loop BB5_45 Depth 2
	;; [unrolled: 1-line block ×11, first 2 shown]
	s_wait_alu 0xfffe
	v_cmp_lt_u64_e64 s3, s[10:11], 56
	v_cmp_gt_u64_e64 s14, s[10:11], 7
	s_and_b32 s3, s3, exec_lo
	s_cselect_b32 s13, s11, 0
	s_cselect_b32 s12, s10, 56
	s_and_b32 vcc_lo, exec_lo, s14
	s_wait_alu 0xfffe
	s_cbranch_vccnz .LBB5_40
; %bb.36:                               ;   in Loop: Header=BB5_35 Depth=1
	v_mov_b32_e32 v4, 0
	v_mov_b32_e32 v5, 0
	s_cmp_eq_u64 s[10:11], 0
	s_cbranch_scc1 .LBB5_39
; %bb.37:                               ;   in Loop: Header=BB5_35 Depth=1
	s_mov_b64 s[14:15], 0
	s_mov_b64 s[16:17], 0
.LBB5_38:                               ;   Parent Loop BB5_35 Depth=1
                                        ; =>  This Inner Loop Header: Depth=2
	s_wait_alu 0xfffe
	s_add_nc_u64 s[18:19], s[8:9], s[16:17]
	s_add_nc_u64 s[16:17], s[16:17], 1
	global_load_u8 v6, v7, s[18:19]
	s_wait_alu 0xfffe
	s_cmp_lg_u32 s12, s16
	s_wait_loadcnt 0x0
	v_and_b32_e32 v6, 0xffff, v6
	s_delay_alu instid0(VALU_DEP_1) | instskip(SKIP_1) | instid1(VALU_DEP_1)
	v_lshlrev_b64_e32 v[10:11], s14, v[6:7]
	s_add_nc_u64 s[14:15], s[14:15], 8
	v_or_b32_e32 v4, v10, v4
	s_delay_alu instid0(VALU_DEP_2)
	v_or_b32_e32 v5, v11, v5
	s_cbranch_scc1 .LBB5_38
.LBB5_39:                               ;   in Loop: Header=BB5_35 Depth=1
	s_mov_b64 s[16:17], s[8:9]
	s_mov_b32 s3, 0
	s_cbranch_execz .LBB5_41
	s_branch .LBB5_42
.LBB5_40:                               ;   in Loop: Header=BB5_35 Depth=1
	s_add_nc_u64 s[16:17], s[8:9], 8
	s_mov_b32 s3, 0
.LBB5_41:                               ;   in Loop: Header=BB5_35 Depth=1
	global_load_b64 v[4:5], v7, s[8:9]
	s_add_co_i32 s3, s12, -8
.LBB5_42:                               ;   in Loop: Header=BB5_35 Depth=1
	s_wait_alu 0xfffe
	s_cmp_gt_u32 s3, 7
	s_cbranch_scc1 .LBB5_47
; %bb.43:                               ;   in Loop: Header=BB5_35 Depth=1
	v_mov_b32_e32 v10, 0
	v_mov_b32_e32 v11, 0
	s_cmp_eq_u32 s3, 0
	s_cbranch_scc1 .LBB5_46
; %bb.44:                               ;   in Loop: Header=BB5_35 Depth=1
	s_mov_b64 s[14:15], 0
	s_mov_b64 s[18:19], 0
.LBB5_45:                               ;   Parent Loop BB5_35 Depth=1
                                        ; =>  This Inner Loop Header: Depth=2
	s_wait_alu 0xfffe
	s_add_nc_u64 s[24:25], s[16:17], s[18:19]
	s_add_nc_u64 s[18:19], s[18:19], 1
	global_load_u8 v6, v7, s[24:25]
	s_wait_alu 0xfffe
	s_cmp_lg_u32 s3, s18
	s_wait_loadcnt 0x0
	v_and_b32_e32 v6, 0xffff, v6
	s_delay_alu instid0(VALU_DEP_1) | instskip(SKIP_1) | instid1(VALU_DEP_1)
	v_lshlrev_b64_e32 v[12:13], s14, v[6:7]
	s_add_nc_u64 s[14:15], s[14:15], 8
	v_or_b32_e32 v10, v12, v10
	s_delay_alu instid0(VALU_DEP_2)
	v_or_b32_e32 v11, v13, v11
	s_cbranch_scc1 .LBB5_45
.LBB5_46:                               ;   in Loop: Header=BB5_35 Depth=1
	s_mov_b64 s[14:15], s[16:17]
	s_mov_b32 s24, 0
	s_cbranch_execz .LBB5_48
	s_branch .LBB5_49
.LBB5_47:                               ;   in Loop: Header=BB5_35 Depth=1
	s_add_nc_u64 s[14:15], s[16:17], 8
                                        ; implicit-def: $vgpr10_vgpr11
	s_mov_b32 s24, 0
.LBB5_48:                               ;   in Loop: Header=BB5_35 Depth=1
	global_load_b64 v[10:11], v7, s[16:17]
	s_add_co_i32 s24, s3, -8
.LBB5_49:                               ;   in Loop: Header=BB5_35 Depth=1
	s_delay_alu instid0(SALU_CYCLE_1)
	s_cmp_gt_u32 s24, 7
	s_cbranch_scc1 .LBB5_54
; %bb.50:                               ;   in Loop: Header=BB5_35 Depth=1
	v_mov_b32_e32 v12, 0
	v_mov_b32_e32 v13, 0
	s_cmp_eq_u32 s24, 0
	s_cbranch_scc1 .LBB5_53
; %bb.51:                               ;   in Loop: Header=BB5_35 Depth=1
	s_mov_b64 s[16:17], 0
	s_mov_b64 s[18:19], 0
.LBB5_52:                               ;   Parent Loop BB5_35 Depth=1
                                        ; =>  This Inner Loop Header: Depth=2
	s_wait_alu 0xfffe
	s_add_nc_u64 s[26:27], s[14:15], s[18:19]
	s_add_nc_u64 s[18:19], s[18:19], 1
	global_load_u8 v6, v7, s[26:27]
	s_wait_alu 0xfffe
	s_cmp_lg_u32 s24, s18
	s_wait_loadcnt 0x0
	v_and_b32_e32 v6, 0xffff, v6
	s_delay_alu instid0(VALU_DEP_1) | instskip(SKIP_1) | instid1(VALU_DEP_1)
	v_lshlrev_b64_e32 v[14:15], s16, v[6:7]
	s_add_nc_u64 s[16:17], s[16:17], 8
	v_or_b32_e32 v12, v14, v12
	s_delay_alu instid0(VALU_DEP_2)
	v_or_b32_e32 v13, v15, v13
	s_cbranch_scc1 .LBB5_52
.LBB5_53:                               ;   in Loop: Header=BB5_35 Depth=1
	s_wait_alu 0xfffe
	s_mov_b64 s[16:17], s[14:15]
	s_mov_b32 s3, 0
	s_cbranch_execz .LBB5_55
	s_branch .LBB5_56
.LBB5_54:                               ;   in Loop: Header=BB5_35 Depth=1
	s_wait_alu 0xfffe
	s_add_nc_u64 s[16:17], s[14:15], 8
	s_mov_b32 s3, 0
.LBB5_55:                               ;   in Loop: Header=BB5_35 Depth=1
	global_load_b64 v[12:13], v7, s[14:15]
	s_add_co_i32 s3, s24, -8
.LBB5_56:                               ;   in Loop: Header=BB5_35 Depth=1
	s_wait_alu 0xfffe
	s_cmp_gt_u32 s3, 7
	s_cbranch_scc1 .LBB5_61
; %bb.57:                               ;   in Loop: Header=BB5_35 Depth=1
	v_mov_b32_e32 v14, 0
	v_mov_b32_e32 v15, 0
	s_cmp_eq_u32 s3, 0
	s_cbranch_scc1 .LBB5_60
; %bb.58:                               ;   in Loop: Header=BB5_35 Depth=1
	s_mov_b64 s[14:15], 0
	s_mov_b64 s[18:19], 0
.LBB5_59:                               ;   Parent Loop BB5_35 Depth=1
                                        ; =>  This Inner Loop Header: Depth=2
	s_wait_alu 0xfffe
	s_add_nc_u64 s[24:25], s[16:17], s[18:19]
	s_add_nc_u64 s[18:19], s[18:19], 1
	global_load_u8 v6, v7, s[24:25]
	s_wait_alu 0xfffe
	s_cmp_lg_u32 s3, s18
	s_wait_loadcnt 0x0
	v_and_b32_e32 v6, 0xffff, v6
	s_delay_alu instid0(VALU_DEP_1) | instskip(SKIP_1) | instid1(VALU_DEP_1)
	v_lshlrev_b64_e32 v[16:17], s14, v[6:7]
	s_add_nc_u64 s[14:15], s[14:15], 8
	v_or_b32_e32 v14, v16, v14
	s_delay_alu instid0(VALU_DEP_2)
	v_or_b32_e32 v15, v17, v15
	s_cbranch_scc1 .LBB5_59
.LBB5_60:                               ;   in Loop: Header=BB5_35 Depth=1
	s_mov_b64 s[14:15], s[16:17]
	s_mov_b32 s24, 0
	s_cbranch_execz .LBB5_62
	s_branch .LBB5_63
.LBB5_61:                               ;   in Loop: Header=BB5_35 Depth=1
	s_add_nc_u64 s[14:15], s[16:17], 8
                                        ; implicit-def: $vgpr14_vgpr15
	s_mov_b32 s24, 0
.LBB5_62:                               ;   in Loop: Header=BB5_35 Depth=1
	global_load_b64 v[14:15], v7, s[16:17]
	s_add_co_i32 s24, s3, -8
.LBB5_63:                               ;   in Loop: Header=BB5_35 Depth=1
	s_delay_alu instid0(SALU_CYCLE_1)
	s_cmp_gt_u32 s24, 7
	s_cbranch_scc1 .LBB5_68
; %bb.64:                               ;   in Loop: Header=BB5_35 Depth=1
	v_mov_b32_e32 v16, 0
	v_mov_b32_e32 v17, 0
	s_cmp_eq_u32 s24, 0
	s_cbranch_scc1 .LBB5_67
; %bb.65:                               ;   in Loop: Header=BB5_35 Depth=1
	s_mov_b64 s[16:17], 0
	s_mov_b64 s[18:19], 0
.LBB5_66:                               ;   Parent Loop BB5_35 Depth=1
                                        ; =>  This Inner Loop Header: Depth=2
	s_wait_alu 0xfffe
	s_add_nc_u64 s[26:27], s[14:15], s[18:19]
	s_add_nc_u64 s[18:19], s[18:19], 1
	global_load_u8 v6, v7, s[26:27]
	s_wait_alu 0xfffe
	s_cmp_lg_u32 s24, s18
	s_wait_loadcnt 0x0
	v_and_b32_e32 v6, 0xffff, v6
	s_delay_alu instid0(VALU_DEP_1) | instskip(SKIP_1) | instid1(VALU_DEP_1)
	v_lshlrev_b64_e32 v[18:19], s16, v[6:7]
	s_add_nc_u64 s[16:17], s[16:17], 8
	v_or_b32_e32 v16, v18, v16
	s_delay_alu instid0(VALU_DEP_2)
	v_or_b32_e32 v17, v19, v17
	s_cbranch_scc1 .LBB5_66
.LBB5_67:                               ;   in Loop: Header=BB5_35 Depth=1
	s_wait_alu 0xfffe
	s_mov_b64 s[16:17], s[14:15]
	s_mov_b32 s3, 0
	s_cbranch_execz .LBB5_69
	s_branch .LBB5_70
.LBB5_68:                               ;   in Loop: Header=BB5_35 Depth=1
	s_wait_alu 0xfffe
	s_add_nc_u64 s[16:17], s[14:15], 8
	s_mov_b32 s3, 0
.LBB5_69:                               ;   in Loop: Header=BB5_35 Depth=1
	global_load_b64 v[16:17], v7, s[14:15]
	s_add_co_i32 s3, s24, -8
.LBB5_70:                               ;   in Loop: Header=BB5_35 Depth=1
	s_wait_alu 0xfffe
	s_cmp_gt_u32 s3, 7
	s_cbranch_scc1 .LBB5_75
; %bb.71:                               ;   in Loop: Header=BB5_35 Depth=1
	v_mov_b32_e32 v18, 0
	v_mov_b32_e32 v19, 0
	s_cmp_eq_u32 s3, 0
	s_cbranch_scc1 .LBB5_74
; %bb.72:                               ;   in Loop: Header=BB5_35 Depth=1
	s_mov_b64 s[14:15], 0
	s_mov_b64 s[18:19], 0
.LBB5_73:                               ;   Parent Loop BB5_35 Depth=1
                                        ; =>  This Inner Loop Header: Depth=2
	s_wait_alu 0xfffe
	s_add_nc_u64 s[24:25], s[16:17], s[18:19]
	s_add_nc_u64 s[18:19], s[18:19], 1
	global_load_u8 v6, v7, s[24:25]
	s_wait_alu 0xfffe
	s_cmp_lg_u32 s3, s18
	s_wait_loadcnt 0x0
	v_and_b32_e32 v6, 0xffff, v6
	s_delay_alu instid0(VALU_DEP_1) | instskip(SKIP_1) | instid1(VALU_DEP_1)
	v_lshlrev_b64_e32 v[20:21], s14, v[6:7]
	s_add_nc_u64 s[14:15], s[14:15], 8
	v_or_b32_e32 v18, v20, v18
	s_delay_alu instid0(VALU_DEP_2)
	v_or_b32_e32 v19, v21, v19
	s_cbranch_scc1 .LBB5_73
.LBB5_74:                               ;   in Loop: Header=BB5_35 Depth=1
	s_mov_b64 s[14:15], s[16:17]
	s_mov_b32 s24, 0
	s_cbranch_execz .LBB5_76
	s_branch .LBB5_77
.LBB5_75:                               ;   in Loop: Header=BB5_35 Depth=1
	s_add_nc_u64 s[14:15], s[16:17], 8
                                        ; implicit-def: $vgpr18_vgpr19
	s_mov_b32 s24, 0
.LBB5_76:                               ;   in Loop: Header=BB5_35 Depth=1
	global_load_b64 v[18:19], v7, s[16:17]
	s_add_co_i32 s24, s3, -8
.LBB5_77:                               ;   in Loop: Header=BB5_35 Depth=1
	s_delay_alu instid0(SALU_CYCLE_1)
	s_cmp_gt_u32 s24, 7
	s_cbranch_scc1 .LBB5_82
; %bb.78:                               ;   in Loop: Header=BB5_35 Depth=1
	v_mov_b32_e32 v20, 0
	v_mov_b32_e32 v21, 0
	s_cmp_eq_u32 s24, 0
	s_cbranch_scc1 .LBB5_81
; %bb.79:                               ;   in Loop: Header=BB5_35 Depth=1
	s_mov_b64 s[16:17], 0
	s_wait_alu 0xfffe
	s_mov_b64 s[18:19], s[14:15]
.LBB5_80:                               ;   Parent Loop BB5_35 Depth=1
                                        ; =>  This Inner Loop Header: Depth=2
	global_load_u8 v6, v7, s[18:19]
	s_add_co_i32 s24, s24, -1
	s_wait_alu 0xfffe
	s_add_nc_u64 s[18:19], s[18:19], 1
	s_cmp_lg_u32 s24, 0
	s_wait_loadcnt 0x0
	v_and_b32_e32 v6, 0xffff, v6
	s_delay_alu instid0(VALU_DEP_1) | instskip(SKIP_1) | instid1(VALU_DEP_1)
	v_lshlrev_b64_e32 v[22:23], s16, v[6:7]
	s_add_nc_u64 s[16:17], s[16:17], 8
	v_or_b32_e32 v20, v22, v20
	s_delay_alu instid0(VALU_DEP_2)
	v_or_b32_e32 v21, v23, v21
	s_cbranch_scc1 .LBB5_80
.LBB5_81:                               ;   in Loop: Header=BB5_35 Depth=1
	s_cbranch_execz .LBB5_83
	s_branch .LBB5_84
.LBB5_82:                               ;   in Loop: Header=BB5_35 Depth=1
.LBB5_83:                               ;   in Loop: Header=BB5_35 Depth=1
	global_load_b64 v[20:21], v7, s[14:15]
.LBB5_84:                               ;   in Loop: Header=BB5_35 Depth=1
	v_readfirstlane_b32 s3, v33
	v_mov_b32_e32 v27, 0
	v_mov_b32_e32 v28, 0
	s_wait_alu 0xf1ff
	s_delay_alu instid0(VALU_DEP_3)
	v_cmp_eq_u32_e64 s3, s3, v33
	s_and_saveexec_b32 s14, s3
	s_cbranch_execz .LBB5_90
; %bb.85:                               ;   in Loop: Header=BB5_35 Depth=1
	global_load_b64 v[24:25], v7, s[6:7] offset:24 scope:SCOPE_SYS
	s_wait_loadcnt 0x0
	global_inv scope:SCOPE_SYS
	s_clause 0x1
	global_load_b64 v[22:23], v7, s[6:7] offset:40
	global_load_b64 v[27:28], v7, s[6:7]
	s_mov_b32 s15, exec_lo
	s_wait_loadcnt 0x1
	v_and_b32_e32 v6, v23, v25
	v_and_b32_e32 v22, v22, v24
	s_delay_alu instid0(VALU_DEP_2) | instskip(NEXT) | instid1(VALU_DEP_2)
	v_mul_lo_u32 v6, 24, v6
	v_mul_lo_u32 v23, 0, v22
	v_mul_hi_u32 v29, 24, v22
	v_mul_lo_u32 v22, 24, v22
	s_delay_alu instid0(VALU_DEP_3) | instskip(SKIP_1) | instid1(VALU_DEP_2)
	v_add_nc_u32_e32 v6, v6, v23
	s_wait_loadcnt 0x0
	v_add_co_u32 v22, vcc_lo, v27, v22
	s_delay_alu instid0(VALU_DEP_2) | instskip(SKIP_1) | instid1(VALU_DEP_1)
	v_add_nc_u32_e32 v6, v6, v29
	s_wait_alu 0xfffd
	v_add_co_ci_u32_e64 v23, null, v28, v6, vcc_lo
	global_load_b64 v[22:23], v[22:23], off scope:SCOPE_SYS
	s_wait_loadcnt 0x0
	global_atomic_cmpswap_b64 v[27:28], v7, v[22:25], s[6:7] offset:24 th:TH_ATOMIC_RETURN scope:SCOPE_SYS
	s_wait_loadcnt 0x0
	global_inv scope:SCOPE_SYS
	v_cmpx_ne_u64_e64 v[27:28], v[24:25]
	s_cbranch_execz .LBB5_89
; %bb.86:                               ;   in Loop: Header=BB5_35 Depth=1
	s_mov_b32 s16, 0
.LBB5_87:                               ;   Parent Loop BB5_35 Depth=1
                                        ; =>  This Inner Loop Header: Depth=2
	s_sleep 1
	s_clause 0x1
	global_load_b64 v[22:23], v7, s[6:7] offset:40
	global_load_b64 v[29:30], v7, s[6:7]
	v_dual_mov_b32 v24, v27 :: v_dual_mov_b32 v25, v28
	s_wait_loadcnt 0x1
	s_delay_alu instid0(VALU_DEP_1) | instskip(NEXT) | instid1(VALU_DEP_2)
	v_and_b32_e32 v6, v22, v24
	v_and_b32_e32 v22, v23, v25
	s_wait_loadcnt 0x0
	s_delay_alu instid0(VALU_DEP_2) | instskip(NEXT) | instid1(VALU_DEP_1)
	v_mad_co_u64_u32 v[27:28], null, v6, 24, v[29:30]
	v_mov_b32_e32 v6, v28
	s_delay_alu instid0(VALU_DEP_1) | instskip(NEXT) | instid1(VALU_DEP_1)
	v_mad_co_u64_u32 v[22:23], null, v22, 24, v[6:7]
	v_mov_b32_e32 v28, v22
	global_load_b64 v[22:23], v[27:28], off scope:SCOPE_SYS
	s_wait_loadcnt 0x0
	global_atomic_cmpswap_b64 v[27:28], v7, v[22:25], s[6:7] offset:24 th:TH_ATOMIC_RETURN scope:SCOPE_SYS
	s_wait_loadcnt 0x0
	global_inv scope:SCOPE_SYS
	v_cmp_eq_u64_e32 vcc_lo, v[27:28], v[24:25]
	s_wait_alu 0xfffe
	s_or_b32 s16, vcc_lo, s16
	s_wait_alu 0xfffe
	s_and_not1_b32 exec_lo, exec_lo, s16
	s_cbranch_execnz .LBB5_87
; %bb.88:                               ;   in Loop: Header=BB5_35 Depth=1
	s_or_b32 exec_lo, exec_lo, s16
.LBB5_89:                               ;   in Loop: Header=BB5_35 Depth=1
	s_wait_alu 0xfffe
	s_or_b32 exec_lo, exec_lo, s15
.LBB5_90:                               ;   in Loop: Header=BB5_35 Depth=1
	s_wait_alu 0xfffe
	s_or_b32 exec_lo, exec_lo, s14
	s_clause 0x1
	global_load_b64 v[29:30], v7, s[6:7] offset:40
	global_load_b128 v[22:25], v7, s[6:7]
	v_readfirstlane_b32 s15, v28
	v_readfirstlane_b32 s14, v27
	s_mov_b32 s16, exec_lo
	s_wait_loadcnt 0x1
	s_wait_alu 0xf1ff
	v_and_b32_e32 v30, s15, v30
	v_and_b32_e32 v29, s14, v29
	s_delay_alu instid0(VALU_DEP_2) | instskip(NEXT) | instid1(VALU_DEP_2)
	v_mul_lo_u32 v6, 24, v30
	v_mul_lo_u32 v27, 0, v29
	v_mul_hi_u32 v28, 24, v29
	v_mul_lo_u32 v36, 24, v29
	s_delay_alu instid0(VALU_DEP_3) | instskip(SKIP_1) | instid1(VALU_DEP_2)
	v_add_nc_u32_e32 v6, v6, v27
	s_wait_loadcnt 0x0
	v_add_co_u32 v27, vcc_lo, v22, v36
	s_delay_alu instid0(VALU_DEP_2) | instskip(SKIP_1) | instid1(VALU_DEP_1)
	v_add_nc_u32_e32 v6, v6, v28
	s_wait_alu 0xfffd
	v_add_co_ci_u32_e64 v28, null, v23, v6, vcc_lo
	s_and_saveexec_b32 s17, s3
	s_cbranch_execz .LBB5_92
; %bb.91:                               ;   in Loop: Header=BB5_35 Depth=1
	s_wait_alu 0xfffe
	v_mov_b32_e32 v6, s16
	global_store_b128 v[27:28], v[6:9], off offset:8
.LBB5_92:                               ;   in Loop: Header=BB5_35 Depth=1
	s_wait_alu 0xfffe
	s_or_b32 exec_lo, exec_lo, s17
	v_cmp_lt_u64_e64 vcc_lo, s[10:11], 57
	v_lshlrev_b64_e32 v[29:30], 12, v[29:30]
	v_and_b32_e32 v2, 0xffffff1f, v2
	s_lshl_b32 s16, s12, 2
	s_wait_alu 0xfffe
	s_add_co_i32 s16, s16, 28
	s_wait_alu 0xfffd
	v_cndmask_b32_e32 v6, 0, v35, vcc_lo
	v_add_co_u32 v24, vcc_lo, v24, v29
	s_wait_alu 0xfffd
	v_add_co_ci_u32_e64 v25, null, v25, v30, vcc_lo
	s_delay_alu instid0(VALU_DEP_3) | instskip(NEXT) | instid1(VALU_DEP_2)
	v_or_b32_e32 v2, v2, v6
	v_readfirstlane_b32 s17, v25
	s_wait_alu 0xfffe
	s_delay_alu instid0(VALU_DEP_2)
	v_and_or_b32 v2, 0x1e0, s16, v2
	v_readfirstlane_b32 s16, v24
	s_clause 0x3
	global_store_b128 v32, v[2:5], s[16:17]
	global_store_b128 v32, v[10:13], s[16:17] offset:16
	global_store_b128 v32, v[14:17], s[16:17] offset:32
	;; [unrolled: 1-line block ×3, first 2 shown]
	s_and_saveexec_b32 s16, s3
	s_cbranch_execz .LBB5_100
; %bb.93:                               ;   in Loop: Header=BB5_35 Depth=1
	s_clause 0x1
	global_load_b64 v[14:15], v7, s[6:7] offset:32 scope:SCOPE_SYS
	global_load_b64 v[2:3], v7, s[6:7] offset:40
	s_mov_b32 s17, exec_lo
	v_dual_mov_b32 v12, s14 :: v_dual_mov_b32 v13, s15
	s_wait_loadcnt 0x0
	v_and_b32_e32 v2, s14, v2
	v_and_b32_e32 v3, s15, v3
	s_delay_alu instid0(VALU_DEP_2) | instskip(NEXT) | instid1(VALU_DEP_2)
	v_mul_lo_u32 v4, 0, v2
	v_mul_lo_u32 v3, 24, v3
	v_mul_hi_u32 v5, 24, v2
	v_mul_lo_u32 v2, 24, v2
	s_delay_alu instid0(VALU_DEP_3) | instskip(NEXT) | instid1(VALU_DEP_2)
	v_add_nc_u32_e32 v3, v3, v4
	v_add_co_u32 v10, vcc_lo, v22, v2
	s_delay_alu instid0(VALU_DEP_2) | instskip(SKIP_1) | instid1(VALU_DEP_1)
	v_add_nc_u32_e32 v3, v3, v5
	s_wait_alu 0xfffd
	v_add_co_ci_u32_e64 v11, null, v23, v3, vcc_lo
	global_store_b64 v[10:11], v[14:15], off
	global_wb scope:SCOPE_SYS
	s_wait_storecnt 0x0
	global_atomic_cmpswap_b64 v[4:5], v7, v[12:15], s[6:7] offset:32 th:TH_ATOMIC_RETURN scope:SCOPE_SYS
	s_wait_loadcnt 0x0
	v_cmpx_ne_u64_e64 v[4:5], v[14:15]
	s_cbranch_execz .LBB5_96
; %bb.94:                               ;   in Loop: Header=BB5_35 Depth=1
	s_mov_b32 s18, 0
.LBB5_95:                               ;   Parent Loop BB5_35 Depth=1
                                        ; =>  This Inner Loop Header: Depth=2
	v_dual_mov_b32 v2, s14 :: v_dual_mov_b32 v3, s15
	s_sleep 1
	global_store_b64 v[10:11], v[4:5], off
	global_wb scope:SCOPE_SYS
	s_wait_storecnt 0x0
	global_atomic_cmpswap_b64 v[2:3], v7, v[2:5], s[6:7] offset:32 th:TH_ATOMIC_RETURN scope:SCOPE_SYS
	s_wait_loadcnt 0x0
	v_cmp_eq_u64_e32 vcc_lo, v[2:3], v[4:5]
	v_dual_mov_b32 v5, v3 :: v_dual_mov_b32 v4, v2
	s_wait_alu 0xfffe
	s_or_b32 s18, vcc_lo, s18
	s_wait_alu 0xfffe
	s_and_not1_b32 exec_lo, exec_lo, s18
	s_cbranch_execnz .LBB5_95
.LBB5_96:                               ;   in Loop: Header=BB5_35 Depth=1
	s_wait_alu 0xfffe
	s_or_b32 exec_lo, exec_lo, s17
	global_load_b64 v[2:3], v7, s[6:7] offset:16
	s_mov_b32 s18, exec_lo
	s_mov_b32 s17, exec_lo
	s_wait_alu 0xfffe
	v_mbcnt_lo_u32_b32 v4, s18, 0
	s_delay_alu instid0(VALU_DEP_1)
	v_cmpx_eq_u32_e32 0, v4
	s_cbranch_execz .LBB5_98
; %bb.97:                               ;   in Loop: Header=BB5_35 Depth=1
	s_bcnt1_i32_b32 s18, s18
	s_wait_alu 0xfffe
	v_mov_b32_e32 v6, s18
	global_wb scope:SCOPE_SYS
	s_wait_loadcnt 0x0
	s_wait_storecnt 0x0
	global_atomic_add_u64 v[2:3], v[6:7], off offset:8 scope:SCOPE_SYS
.LBB5_98:                               ;   in Loop: Header=BB5_35 Depth=1
	s_wait_alu 0xfffe
	s_or_b32 exec_lo, exec_lo, s17
	s_wait_loadcnt 0x0
	global_load_b64 v[4:5], v[2:3], off offset:16
	s_wait_loadcnt 0x0
	v_cmp_eq_u64_e32 vcc_lo, 0, v[4:5]
	s_cbranch_vccnz .LBB5_100
; %bb.99:                               ;   in Loop: Header=BB5_35 Depth=1
	global_load_b32 v6, v[2:3], off offset:24
	s_wait_loadcnt 0x0
	v_readfirstlane_b32 s17, v6
	global_wb scope:SCOPE_SYS
	s_wait_storecnt 0x0
	global_store_b64 v[4:5], v[6:7], off scope:SCOPE_SYS
	s_and_b32 m0, s17, 0xffffff
	s_sendmsg sendmsg(MSG_INTERRUPT)
.LBB5_100:                              ;   in Loop: Header=BB5_35 Depth=1
	s_wait_alu 0xfffe
	s_or_b32 exec_lo, exec_lo, s16
	v_add_co_u32 v2, vcc_lo, v24, v32
	s_wait_alu 0xfffd
	v_add_co_ci_u32_e64 v3, null, 0, v25, vcc_lo
	s_branch .LBB5_104
.LBB5_101:                              ;   in Loop: Header=BB5_104 Depth=2
	s_wait_alu 0xfffe
	s_or_b32 exec_lo, exec_lo, s16
	s_delay_alu instid0(VALU_DEP_1)
	v_readfirstlane_b32 s16, v4
	s_cmp_eq_u32 s16, 0
	s_cbranch_scc1 .LBB5_103
; %bb.102:                              ;   in Loop: Header=BB5_104 Depth=2
	s_sleep 1
	s_cbranch_execnz .LBB5_104
	s_branch .LBB5_106
.LBB5_103:                              ;   in Loop: Header=BB5_35 Depth=1
	s_branch .LBB5_106
.LBB5_104:                              ;   Parent Loop BB5_35 Depth=1
                                        ; =>  This Inner Loop Header: Depth=2
	v_mov_b32_e32 v4, 1
	s_and_saveexec_b32 s16, s3
	s_cbranch_execz .LBB5_101
; %bb.105:                              ;   in Loop: Header=BB5_104 Depth=2
	global_load_b32 v4, v[27:28], off offset:20 scope:SCOPE_SYS
	s_wait_loadcnt 0x0
	global_inv scope:SCOPE_SYS
	v_and_b32_e32 v4, 1, v4
	s_branch .LBB5_101
.LBB5_106:                              ;   in Loop: Header=BB5_35 Depth=1
	global_load_b64 v[2:3], v[2:3], off
	s_and_saveexec_b32 s16, s3
	s_cbranch_execz .LBB5_34
; %bb.107:                              ;   in Loop: Header=BB5_35 Depth=1
	s_clause 0x2
	global_load_b64 v[4:5], v7, s[6:7] offset:40
	global_load_b64 v[14:15], v7, s[6:7] offset:24 scope:SCOPE_SYS
	global_load_b64 v[10:11], v7, s[6:7]
	s_wait_loadcnt 0x2
	v_readfirstlane_b32 s18, v4
	v_readfirstlane_b32 s19, v5
	s_add_nc_u64 s[24:25], s[18:19], 1
	s_delay_alu instid0(SALU_CYCLE_1)
	s_add_nc_u64 s[14:15], s[24:25], s[14:15]
	s_wait_alu 0xfffe
	s_cmp_eq_u64 s[14:15], 0
	s_cselect_b32 s15, s25, s15
	s_cselect_b32 s14, s24, s14
	s_wait_alu 0xfffe
	v_dual_mov_b32 v13, s15 :: v_dual_mov_b32 v12, s14
	s_and_b64 s[18:19], s[14:15], s[18:19]
	s_wait_alu 0xfffe
	s_mul_u64 s[18:19], s[18:19], 24
	s_wait_loadcnt 0x0
	s_wait_alu 0xfffe
	v_add_co_u32 v4, vcc_lo, v10, s18
	s_wait_alu 0xfffd
	v_add_co_ci_u32_e64 v5, null, s19, v11, vcc_lo
	global_store_b64 v[4:5], v[14:15], off
	global_wb scope:SCOPE_SYS
	s_wait_storecnt 0x0
	global_atomic_cmpswap_b64 v[12:13], v7, v[12:15], s[6:7] offset:24 th:TH_ATOMIC_RETURN scope:SCOPE_SYS
	s_wait_loadcnt 0x0
	v_cmp_ne_u64_e32 vcc_lo, v[12:13], v[14:15]
	s_and_b32 exec_lo, exec_lo, vcc_lo
	s_cbranch_execz .LBB5_34
; %bb.108:                              ;   in Loop: Header=BB5_35 Depth=1
	s_mov_b32 s3, 0
.LBB5_109:                              ;   Parent Loop BB5_35 Depth=1
                                        ; =>  This Inner Loop Header: Depth=2
	v_dual_mov_b32 v10, s14 :: v_dual_mov_b32 v11, s15
	s_sleep 1
	global_store_b64 v[4:5], v[12:13], off
	global_wb scope:SCOPE_SYS
	s_wait_storecnt 0x0
	global_atomic_cmpswap_b64 v[10:11], v7, v[10:13], s[6:7] offset:24 th:TH_ATOMIC_RETURN scope:SCOPE_SYS
	s_wait_loadcnt 0x0
	v_cmp_eq_u64_e32 vcc_lo, v[10:11], v[12:13]
	v_dual_mov_b32 v13, v11 :: v_dual_mov_b32 v12, v10
	s_wait_alu 0xfffe
	s_or_b32 s3, vcc_lo, s3
	s_wait_alu 0xfffe
	s_and_not1_b32 exec_lo, exec_lo, s3
	s_cbranch_execnz .LBB5_109
	s_branch .LBB5_34
.LBB5_110:
	s_branch .LBB5_138
.LBB5_111:
                                        ; implicit-def: $vgpr2_vgpr3
	s_cbranch_execz .LBB5_138
; %bb.112:
	v_readfirstlane_b32 s3, v33
	v_mov_b32_e32 v8, 0
	v_mov_b32_e32 v9, 0
	s_wait_alu 0xf1ff
	s_delay_alu instid0(VALU_DEP_3)
	v_cmp_eq_u32_e64 s3, s3, v33
	s_and_saveexec_b32 s8, s3
	s_cbranch_execz .LBB5_118
; %bb.113:
	s_wait_loadcnt 0x0
	v_mov_b32_e32 v2, 0
	s_mov_b32 s9, exec_lo
	global_load_b64 v[5:6], v2, s[6:7] offset:24 scope:SCOPE_SYS
	s_wait_loadcnt 0x0
	global_inv scope:SCOPE_SYS
	s_clause 0x1
	global_load_b64 v[3:4], v2, s[6:7] offset:40
	global_load_b64 v[7:8], v2, s[6:7]
	s_wait_loadcnt 0x1
	v_and_b32_e32 v4, v4, v6
	v_and_b32_e32 v3, v3, v5
	s_delay_alu instid0(VALU_DEP_2) | instskip(NEXT) | instid1(VALU_DEP_2)
	v_mul_lo_u32 v4, 24, v4
	v_mul_lo_u32 v9, 0, v3
	v_mul_hi_u32 v10, 24, v3
	v_mul_lo_u32 v3, 24, v3
	s_delay_alu instid0(VALU_DEP_3) | instskip(SKIP_1) | instid1(VALU_DEP_2)
	v_add_nc_u32_e32 v4, v4, v9
	s_wait_loadcnt 0x0
	v_add_co_u32 v3, vcc_lo, v7, v3
	s_delay_alu instid0(VALU_DEP_2) | instskip(SKIP_1) | instid1(VALU_DEP_1)
	v_add_nc_u32_e32 v4, v4, v10
	s_wait_alu 0xfffd
	v_add_co_ci_u32_e64 v4, null, v8, v4, vcc_lo
	global_load_b64 v[3:4], v[3:4], off scope:SCOPE_SYS
	s_wait_loadcnt 0x0
	global_atomic_cmpswap_b64 v[8:9], v2, v[3:6], s[6:7] offset:24 th:TH_ATOMIC_RETURN scope:SCOPE_SYS
	s_wait_loadcnt 0x0
	global_inv scope:SCOPE_SYS
	v_cmpx_ne_u64_e64 v[8:9], v[5:6]
	s_cbranch_execz .LBB5_117
; %bb.114:
	s_mov_b32 s10, 0
.LBB5_115:                              ; =>This Inner Loop Header: Depth=1
	s_sleep 1
	s_clause 0x1
	global_load_b64 v[3:4], v2, s[6:7] offset:40
	global_load_b64 v[10:11], v2, s[6:7]
	v_dual_mov_b32 v5, v8 :: v_dual_mov_b32 v6, v9
	s_wait_loadcnt 0x1
	s_delay_alu instid0(VALU_DEP_1) | instskip(NEXT) | instid1(VALU_DEP_2)
	v_and_b32_e32 v3, v3, v5
	v_and_b32_e32 v4, v4, v6
	s_wait_loadcnt 0x0
	s_delay_alu instid0(VALU_DEP_2) | instskip(NEXT) | instid1(VALU_DEP_1)
	v_mad_co_u64_u32 v[7:8], null, v3, 24, v[10:11]
	v_mov_b32_e32 v3, v8
	s_delay_alu instid0(VALU_DEP_1) | instskip(NEXT) | instid1(VALU_DEP_1)
	v_mad_co_u64_u32 v[3:4], null, v4, 24, v[3:4]
	v_mov_b32_e32 v8, v3
	global_load_b64 v[3:4], v[7:8], off scope:SCOPE_SYS
	s_wait_loadcnt 0x0
	global_atomic_cmpswap_b64 v[8:9], v2, v[3:6], s[6:7] offset:24 th:TH_ATOMIC_RETURN scope:SCOPE_SYS
	s_wait_loadcnt 0x0
	global_inv scope:SCOPE_SYS
	v_cmp_eq_u64_e32 vcc_lo, v[8:9], v[5:6]
	s_wait_alu 0xfffe
	s_or_b32 s10, vcc_lo, s10
	s_wait_alu 0xfffe
	s_and_not1_b32 exec_lo, exec_lo, s10
	s_cbranch_execnz .LBB5_115
; %bb.116:
	s_or_b32 exec_lo, exec_lo, s10
.LBB5_117:
	s_wait_alu 0xfffe
	s_or_b32 exec_lo, exec_lo, s9
.LBB5_118:
	s_wait_alu 0xfffe
	s_or_b32 exec_lo, exec_lo, s8
	v_readfirstlane_b32 s9, v9
	s_wait_loadcnt 0x0
	v_mov_b32_e32 v2, 0
	v_readfirstlane_b32 s8, v8
	s_mov_b32 s10, exec_lo
	s_clause 0x1
	global_load_b64 v[10:11], v2, s[6:7] offset:40
	global_load_b128 v[4:7], v2, s[6:7]
	s_wait_loadcnt 0x1
	s_wait_alu 0xf1ff
	v_and_b32_e32 v11, s9, v11
	v_and_b32_e32 v10, s8, v10
	s_delay_alu instid0(VALU_DEP_2) | instskip(NEXT) | instid1(VALU_DEP_2)
	v_mul_lo_u32 v3, 24, v11
	v_mul_lo_u32 v8, 0, v10
	v_mul_hi_u32 v9, 24, v10
	v_mul_lo_u32 v12, 24, v10
	s_delay_alu instid0(VALU_DEP_3) | instskip(SKIP_1) | instid1(VALU_DEP_2)
	v_add_nc_u32_e32 v3, v3, v8
	s_wait_loadcnt 0x0
	v_add_co_u32 v8, vcc_lo, v4, v12
	s_delay_alu instid0(VALU_DEP_2) | instskip(SKIP_1) | instid1(VALU_DEP_1)
	v_add_nc_u32_e32 v3, v3, v9
	s_wait_alu 0xfffd
	v_add_co_ci_u32_e64 v9, null, v5, v3, vcc_lo
	s_and_saveexec_b32 s11, s3
	s_cbranch_execz .LBB5_120
; %bb.119:
	s_wait_alu 0xfffe
	v_dual_mov_b32 v12, s10 :: v_dual_mov_b32 v13, v2
	v_dual_mov_b32 v14, 2 :: v_dual_mov_b32 v15, 1
	global_store_b128 v[8:9], v[12:15], off offset:8
.LBB5_120:
	s_wait_alu 0xfffe
	s_or_b32 exec_lo, exec_lo, s11
	v_lshlrev_b64_e32 v[10:11], 12, v[10:11]
	s_mov_b32 s12, 0
	v_and_or_b32 v0, 0xffffff1f, v0, 32
	s_wait_alu 0xfffe
	s_mov_b32 s13, s12
	s_mov_b32 s14, s12
	;; [unrolled: 1-line block ×3, first 2 shown]
	v_add_co_u32 v6, vcc_lo, v6, v10
	s_wait_alu 0xfffd
	v_add_co_ci_u32_e64 v7, null, v7, v11, vcc_lo
	v_dual_mov_b32 v3, v2 :: v_dual_mov_b32 v10, s12
	s_delay_alu instid0(VALU_DEP_3) | instskip(SKIP_1) | instid1(VALU_DEP_4)
	v_readfirstlane_b32 s10, v6
	v_add_co_u32 v6, vcc_lo, v6, v32
	v_readfirstlane_b32 s11, v7
	s_wait_alu 0xfffd
	v_add_co_ci_u32_e64 v7, null, 0, v7, vcc_lo
	s_wait_alu 0xfffe
	v_dual_mov_b32 v11, s13 :: v_dual_mov_b32 v12, s14
	v_mov_b32_e32 v13, s15
	s_clause 0x3
	global_store_b128 v32, v[0:3], s[10:11]
	global_store_b128 v32, v[10:13], s[10:11] offset:16
	global_store_b128 v32, v[10:13], s[10:11] offset:32
	;; [unrolled: 1-line block ×3, first 2 shown]
	s_and_saveexec_b32 s10, s3
	s_cbranch_execz .LBB5_127
; %bb.121:
	v_mov_b32_e32 v10, 0
	s_mov_b32 s11, exec_lo
	s_clause 0x1
	global_load_b64 v[13:14], v10, s[6:7] offset:32 scope:SCOPE_SYS
	global_load_b64 v[0:1], v10, s[6:7] offset:40
	v_dual_mov_b32 v11, s8 :: v_dual_mov_b32 v12, s9
	s_wait_loadcnt 0x0
	v_and_b32_e32 v1, s9, v1
	v_and_b32_e32 v0, s8, v0
	s_delay_alu instid0(VALU_DEP_2) | instskip(NEXT) | instid1(VALU_DEP_2)
	v_mul_lo_u32 v1, 24, v1
	v_mul_lo_u32 v2, 0, v0
	v_mul_hi_u32 v3, 24, v0
	v_mul_lo_u32 v0, 24, v0
	s_delay_alu instid0(VALU_DEP_3) | instskip(NEXT) | instid1(VALU_DEP_2)
	v_add_nc_u32_e32 v1, v1, v2
	v_add_co_u32 v4, vcc_lo, v4, v0
	s_delay_alu instid0(VALU_DEP_2) | instskip(SKIP_1) | instid1(VALU_DEP_1)
	v_add_nc_u32_e32 v1, v1, v3
	s_wait_alu 0xfffd
	v_add_co_ci_u32_e64 v5, null, v5, v1, vcc_lo
	global_store_b64 v[4:5], v[13:14], off
	global_wb scope:SCOPE_SYS
	s_wait_storecnt 0x0
	global_atomic_cmpswap_b64 v[2:3], v10, v[11:14], s[6:7] offset:32 th:TH_ATOMIC_RETURN scope:SCOPE_SYS
	s_wait_loadcnt 0x0
	v_cmpx_ne_u64_e64 v[2:3], v[13:14]
	s_cbranch_execz .LBB5_123
.LBB5_122:                              ; =>This Inner Loop Header: Depth=1
	v_dual_mov_b32 v0, s8 :: v_dual_mov_b32 v1, s9
	s_sleep 1
	global_store_b64 v[4:5], v[2:3], off
	global_wb scope:SCOPE_SYS
	s_wait_storecnt 0x0
	global_atomic_cmpswap_b64 v[0:1], v10, v[0:3], s[6:7] offset:32 th:TH_ATOMIC_RETURN scope:SCOPE_SYS
	s_wait_loadcnt 0x0
	v_cmp_eq_u64_e32 vcc_lo, v[0:1], v[2:3]
	v_dual_mov_b32 v3, v1 :: v_dual_mov_b32 v2, v0
	s_or_b32 s12, vcc_lo, s12
	s_wait_alu 0xfffe
	s_and_not1_b32 exec_lo, exec_lo, s12
	s_cbranch_execnz .LBB5_122
.LBB5_123:
	s_wait_alu 0xfffe
	s_or_b32 exec_lo, exec_lo, s11
	v_mov_b32_e32 v3, 0
	s_mov_b32 s12, exec_lo
	s_mov_b32 s11, exec_lo
	s_wait_alu 0xfffe
	v_mbcnt_lo_u32_b32 v2, s12, 0
	global_load_b64 v[0:1], v3, s[6:7] offset:16
	v_cmpx_eq_u32_e32 0, v2
	s_cbranch_execz .LBB5_125
; %bb.124:
	s_bcnt1_i32_b32 s12, s12
	s_wait_alu 0xfffe
	v_mov_b32_e32 v2, s12
	global_wb scope:SCOPE_SYS
	s_wait_loadcnt 0x0
	s_wait_storecnt 0x0
	global_atomic_add_u64 v[0:1], v[2:3], off offset:8 scope:SCOPE_SYS
.LBB5_125:
	s_or_b32 exec_lo, exec_lo, s11
	s_wait_loadcnt 0x0
	global_load_b64 v[2:3], v[0:1], off offset:16
	s_wait_loadcnt 0x0
	v_cmp_eq_u64_e32 vcc_lo, 0, v[2:3]
	s_cbranch_vccnz .LBB5_127
; %bb.126:
	global_load_b32 v0, v[0:1], off offset:24
	v_mov_b32_e32 v1, 0
	s_wait_loadcnt 0x0
	v_readfirstlane_b32 s11, v0
	global_wb scope:SCOPE_SYS
	s_wait_storecnt 0x0
	global_store_b64 v[2:3], v[0:1], off scope:SCOPE_SYS
	s_and_b32 m0, s11, 0xffffff
	s_sendmsg sendmsg(MSG_INTERRUPT)
.LBB5_127:
	s_wait_alu 0xfffe
	s_or_b32 exec_lo, exec_lo, s10
	s_branch .LBB5_131
.LBB5_128:                              ;   in Loop: Header=BB5_131 Depth=1
	s_wait_alu 0xfffe
	s_or_b32 exec_lo, exec_lo, s10
	s_delay_alu instid0(VALU_DEP_1)
	v_readfirstlane_b32 s10, v0
	s_cmp_eq_u32 s10, 0
	s_cbranch_scc1 .LBB5_130
; %bb.129:                              ;   in Loop: Header=BB5_131 Depth=1
	s_sleep 1
	s_cbranch_execnz .LBB5_131
	s_branch .LBB5_133
.LBB5_130:
	s_branch .LBB5_133
.LBB5_131:                              ; =>This Inner Loop Header: Depth=1
	v_mov_b32_e32 v0, 1
	s_and_saveexec_b32 s10, s3
	s_cbranch_execz .LBB5_128
; %bb.132:                              ;   in Loop: Header=BB5_131 Depth=1
	global_load_b32 v0, v[8:9], off offset:20 scope:SCOPE_SYS
	s_wait_loadcnt 0x0
	global_inv scope:SCOPE_SYS
	v_and_b32_e32 v0, 1, v0
	s_branch .LBB5_128
.LBB5_133:
	global_load_b64 v[2:3], v[6:7], off
	s_and_saveexec_b32 s10, s3
	s_cbranch_execz .LBB5_137
; %bb.134:
	v_mov_b32_e32 v8, 0
	s_clause 0x2
	global_load_b64 v[0:1], v8, s[6:7] offset:40
	global_load_b64 v[11:12], v8, s[6:7] offset:24 scope:SCOPE_SYS
	global_load_b64 v[4:5], v8, s[6:7]
	s_wait_loadcnt 0x2
	v_readfirstlane_b32 s12, v0
	v_readfirstlane_b32 s13, v1
	s_add_nc_u64 s[14:15], s[12:13], 1
	s_wait_alu 0xfffe
	s_add_nc_u64 s[8:9], s[14:15], s[8:9]
	s_wait_alu 0xfffe
	s_cmp_eq_u64 s[8:9], 0
	s_cselect_b32 s9, s15, s9
	s_cselect_b32 s8, s14, s8
	s_wait_alu 0xfffe
	v_mov_b32_e32 v10, s9
	s_and_b64 s[12:13], s[8:9], s[12:13]
	v_mov_b32_e32 v9, s8
	s_wait_alu 0xfffe
	s_mul_u64 s[12:13], s[12:13], 24
	s_wait_loadcnt 0x0
	s_wait_alu 0xfffe
	v_add_co_u32 v0, vcc_lo, v4, s12
	s_wait_alu 0xfffd
	v_add_co_ci_u32_e64 v1, null, s13, v5, vcc_lo
	global_store_b64 v[0:1], v[11:12], off
	global_wb scope:SCOPE_SYS
	s_wait_storecnt 0x0
	global_atomic_cmpswap_b64 v[6:7], v8, v[9:12], s[6:7] offset:24 th:TH_ATOMIC_RETURN scope:SCOPE_SYS
	s_wait_loadcnt 0x0
	v_cmp_ne_u64_e32 vcc_lo, v[6:7], v[11:12]
	s_and_b32 exec_lo, exec_lo, vcc_lo
	s_cbranch_execz .LBB5_137
; %bb.135:
	s_mov_b32 s3, 0
.LBB5_136:                              ; =>This Inner Loop Header: Depth=1
	v_dual_mov_b32 v4, s8 :: v_dual_mov_b32 v5, s9
	s_sleep 1
	global_store_b64 v[0:1], v[6:7], off
	global_wb scope:SCOPE_SYS
	s_wait_storecnt 0x0
	global_atomic_cmpswap_b64 v[4:5], v8, v[4:7], s[6:7] offset:24 th:TH_ATOMIC_RETURN scope:SCOPE_SYS
	s_wait_loadcnt 0x0
	v_cmp_eq_u64_e32 vcc_lo, v[4:5], v[6:7]
	v_dual_mov_b32 v7, v5 :: v_dual_mov_b32 v6, v4
	s_wait_alu 0xfffe
	s_or_b32 s3, vcc_lo, s3
	s_wait_alu 0xfffe
	s_and_not1_b32 exec_lo, exec_lo, s3
	s_cbranch_execnz .LBB5_136
.LBB5_137:
	s_wait_alu 0xfffe
	s_or_b32 exec_lo, exec_lo, s10
.LBB5_138:
	v_readfirstlane_b32 s3, v33
	s_wait_loadcnt 0x0
	v_mov_b32_e32 v0, 0
	v_mov_b32_e32 v1, 0
	s_wait_alu 0xf1ff
	v_cmp_eq_u32_e64 s3, s3, v33
	s_and_saveexec_b32 s8, s3
	s_cbranch_execz .LBB5_144
; %bb.139:
	v_mov_b32_e32 v4, 0
	s_mov_b32 s9, exec_lo
	global_load_b64 v[7:8], v4, s[6:7] offset:24 scope:SCOPE_SYS
	s_wait_loadcnt 0x0
	global_inv scope:SCOPE_SYS
	s_clause 0x1
	global_load_b64 v[0:1], v4, s[6:7] offset:40
	global_load_b64 v[5:6], v4, s[6:7]
	s_wait_loadcnt 0x1
	v_and_b32_e32 v1, v1, v8
	v_and_b32_e32 v0, v0, v7
	s_delay_alu instid0(VALU_DEP_2) | instskip(NEXT) | instid1(VALU_DEP_2)
	v_mul_lo_u32 v1, 24, v1
	v_mul_lo_u32 v9, 0, v0
	v_mul_hi_u32 v10, 24, v0
	v_mul_lo_u32 v0, 24, v0
	s_delay_alu instid0(VALU_DEP_3) | instskip(SKIP_1) | instid1(VALU_DEP_2)
	v_add_nc_u32_e32 v1, v1, v9
	s_wait_loadcnt 0x0
	v_add_co_u32 v0, vcc_lo, v5, v0
	s_delay_alu instid0(VALU_DEP_2) | instskip(SKIP_1) | instid1(VALU_DEP_1)
	v_add_nc_u32_e32 v1, v1, v10
	s_wait_alu 0xfffd
	v_add_co_ci_u32_e64 v1, null, v6, v1, vcc_lo
	global_load_b64 v[5:6], v[0:1], off scope:SCOPE_SYS
	s_wait_loadcnt 0x0
	global_atomic_cmpswap_b64 v[0:1], v4, v[5:8], s[6:7] offset:24 th:TH_ATOMIC_RETURN scope:SCOPE_SYS
	s_wait_loadcnt 0x0
	global_inv scope:SCOPE_SYS
	v_cmpx_ne_u64_e64 v[0:1], v[7:8]
	s_cbranch_execz .LBB5_143
; %bb.140:
	s_mov_b32 s10, 0
.LBB5_141:                              ; =>This Inner Loop Header: Depth=1
	s_sleep 1
	s_clause 0x1
	global_load_b64 v[5:6], v4, s[6:7] offset:40
	global_load_b64 v[9:10], v4, s[6:7]
	v_dual_mov_b32 v8, v1 :: v_dual_mov_b32 v7, v0
	s_wait_loadcnt 0x1
	s_delay_alu instid0(VALU_DEP_1) | instskip(NEXT) | instid1(VALU_DEP_2)
	v_and_b32_e32 v0, v5, v7
	v_and_b32_e32 v5, v6, v8
	s_wait_loadcnt 0x0
	s_delay_alu instid0(VALU_DEP_2) | instskip(NEXT) | instid1(VALU_DEP_1)
	v_mad_co_u64_u32 v[0:1], null, v0, 24, v[9:10]
	v_mad_co_u64_u32 v[5:6], null, v5, 24, v[1:2]
	s_delay_alu instid0(VALU_DEP_1)
	v_mov_b32_e32 v1, v5
	global_load_b64 v[5:6], v[0:1], off scope:SCOPE_SYS
	s_wait_loadcnt 0x0
	global_atomic_cmpswap_b64 v[0:1], v4, v[5:8], s[6:7] offset:24 th:TH_ATOMIC_RETURN scope:SCOPE_SYS
	s_wait_loadcnt 0x0
	global_inv scope:SCOPE_SYS
	v_cmp_eq_u64_e32 vcc_lo, v[0:1], v[7:8]
	s_wait_alu 0xfffe
	s_or_b32 s10, vcc_lo, s10
	s_wait_alu 0xfffe
	s_and_not1_b32 exec_lo, exec_lo, s10
	s_cbranch_execnz .LBB5_141
; %bb.142:
	s_or_b32 exec_lo, exec_lo, s10
.LBB5_143:
	s_wait_alu 0xfffe
	s_or_b32 exec_lo, exec_lo, s9
.LBB5_144:
	s_wait_alu 0xfffe
	s_or_b32 exec_lo, exec_lo, s8
	v_readfirstlane_b32 s8, v0
	v_mov_b32_e32 v5, 0
	v_readfirstlane_b32 s9, v1
	s_mov_b32 s10, exec_lo
	s_clause 0x1
	global_load_b64 v[10:11], v5, s[6:7] offset:40
	global_load_b128 v[6:9], v5, s[6:7]
	s_wait_loadcnt 0x1
	s_wait_alu 0xf1ff
	v_and_b32_e32 v1, s9, v11
	v_and_b32_e32 v0, s8, v10
	s_delay_alu instid0(VALU_DEP_2) | instskip(NEXT) | instid1(VALU_DEP_2)
	v_mul_lo_u32 v4, 24, v1
	v_mul_lo_u32 v10, 0, v0
	v_mul_hi_u32 v11, 24, v0
	v_mul_lo_u32 v12, 24, v0
	s_delay_alu instid0(VALU_DEP_3) | instskip(SKIP_1) | instid1(VALU_DEP_2)
	v_add_nc_u32_e32 v4, v4, v10
	s_wait_loadcnt 0x0
	v_add_co_u32 v10, vcc_lo, v6, v12
	s_delay_alu instid0(VALU_DEP_2) | instskip(SKIP_1) | instid1(VALU_DEP_1)
	v_add_nc_u32_e32 v4, v4, v11
	s_wait_alu 0xfffd
	v_add_co_ci_u32_e64 v11, null, v7, v4, vcc_lo
	s_and_saveexec_b32 s11, s3
	s_cbranch_execz .LBB5_146
; %bb.145:
	s_wait_alu 0xfffe
	v_dual_mov_b32 v4, s10 :: v_dual_mov_b32 v15, 1
	v_dual_mov_b32 v14, 2 :: v_dual_mov_b32 v13, v5
	s_delay_alu instid0(VALU_DEP_2)
	v_mov_b32_e32 v12, v4
	global_store_b128 v[10:11], v[12:15], off offset:8
.LBB5_146:
	s_wait_alu 0xfffe
	s_or_b32 exec_lo, exec_lo, s11
	v_lshlrev_b64_e32 v[0:1], 12, v[0:1]
	s_mov_b32 s12, 0
	s_add_co_i32 s10, s20, -1
	s_wait_alu 0xfffe
	s_mov_b32 s13, s12
	s_mov_b32 s14, s12
	;; [unrolled: 1-line block ×3, first 2 shown]
	v_add_co_u32 v0, vcc_lo, v8, v0
	s_wait_alu 0xfffd
	v_add_co_ci_u32_e64 v1, null, v9, v1, vcc_lo
	v_and_or_b32 v2, 0xffffff1f, v2, 32
	s_delay_alu instid0(VALU_DEP_3)
	v_add_co_u32 v8, vcc_lo, v0, v32
	v_mov_b32_e32 v4, s10
	v_readfirstlane_b32 s16, v0
	v_readfirstlane_b32 s17, v1
	s_wait_alu 0xfffe
	v_dual_mov_b32 v12, s12 :: v_dual_mov_b32 v15, s15
	s_wait_alu 0xfffd
	v_add_co_ci_u32_e64 v9, null, 0, v1, vcc_lo
	v_dual_mov_b32 v13, s13 :: v_dual_mov_b32 v14, s14
	s_clause 0x3
	global_store_b128 v32, v[2:5], s[16:17]
	global_store_b128 v32, v[12:15], s[16:17] offset:16
	global_store_b128 v32, v[12:15], s[16:17] offset:32
	;; [unrolled: 1-line block ×3, first 2 shown]
	s_and_saveexec_b32 s11, s3
	s_cbranch_execz .LBB5_154
; %bb.147:
	v_mov_b32_e32 v12, 0
	s_mov_b32 s12, exec_lo
	s_clause 0x1
	global_load_b64 v[15:16], v12, s[6:7] offset:32 scope:SCOPE_SYS
	global_load_b64 v[0:1], v12, s[6:7] offset:40
	v_dual_mov_b32 v13, s8 :: v_dual_mov_b32 v14, s9
	s_wait_loadcnt 0x0
	v_and_b32_e32 v1, s9, v1
	v_and_b32_e32 v0, s8, v0
	s_delay_alu instid0(VALU_DEP_2) | instskip(NEXT) | instid1(VALU_DEP_2)
	v_mul_lo_u32 v1, 24, v1
	v_mul_lo_u32 v2, 0, v0
	v_mul_hi_u32 v3, 24, v0
	v_mul_lo_u32 v0, 24, v0
	s_delay_alu instid0(VALU_DEP_3) | instskip(NEXT) | instid1(VALU_DEP_2)
	v_add_nc_u32_e32 v1, v1, v2
	v_add_co_u32 v4, vcc_lo, v6, v0
	s_delay_alu instid0(VALU_DEP_2) | instskip(SKIP_1) | instid1(VALU_DEP_1)
	v_add_nc_u32_e32 v1, v1, v3
	s_wait_alu 0xfffd
	v_add_co_ci_u32_e64 v5, null, v7, v1, vcc_lo
	global_store_b64 v[4:5], v[15:16], off
	global_wb scope:SCOPE_SYS
	s_wait_storecnt 0x0
	global_atomic_cmpswap_b64 v[2:3], v12, v[13:16], s[6:7] offset:32 th:TH_ATOMIC_RETURN scope:SCOPE_SYS
	s_wait_loadcnt 0x0
	v_cmpx_ne_u64_e64 v[2:3], v[15:16]
	s_cbranch_execz .LBB5_150
; %bb.148:
	s_mov_b32 s13, 0
.LBB5_149:                              ; =>This Inner Loop Header: Depth=1
	v_dual_mov_b32 v0, s8 :: v_dual_mov_b32 v1, s9
	s_sleep 1
	global_store_b64 v[4:5], v[2:3], off
	global_wb scope:SCOPE_SYS
	s_wait_storecnt 0x0
	global_atomic_cmpswap_b64 v[0:1], v12, v[0:3], s[6:7] offset:32 th:TH_ATOMIC_RETURN scope:SCOPE_SYS
	s_wait_loadcnt 0x0
	v_cmp_eq_u64_e32 vcc_lo, v[0:1], v[2:3]
	v_dual_mov_b32 v3, v1 :: v_dual_mov_b32 v2, v0
	s_wait_alu 0xfffe
	s_or_b32 s13, vcc_lo, s13
	s_wait_alu 0xfffe
	s_and_not1_b32 exec_lo, exec_lo, s13
	s_cbranch_execnz .LBB5_149
.LBB5_150:
	s_wait_alu 0xfffe
	s_or_b32 exec_lo, exec_lo, s12
	v_mov_b32_e32 v3, 0
	s_mov_b32 s13, exec_lo
	s_mov_b32 s12, exec_lo
	s_wait_alu 0xfffe
	v_mbcnt_lo_u32_b32 v2, s13, 0
	global_load_b64 v[0:1], v3, s[6:7] offset:16
	v_cmpx_eq_u32_e32 0, v2
	s_cbranch_execz .LBB5_152
; %bb.151:
	s_bcnt1_i32_b32 s13, s13
	s_wait_alu 0xfffe
	v_mov_b32_e32 v2, s13
	global_wb scope:SCOPE_SYS
	s_wait_loadcnt 0x0
	s_wait_storecnt 0x0
	global_atomic_add_u64 v[0:1], v[2:3], off offset:8 scope:SCOPE_SYS
.LBB5_152:
	s_or_b32 exec_lo, exec_lo, s12
	s_wait_loadcnt 0x0
	global_load_b64 v[2:3], v[0:1], off offset:16
	s_wait_loadcnt 0x0
	v_cmp_eq_u64_e32 vcc_lo, 0, v[2:3]
	s_cbranch_vccnz .LBB5_154
; %bb.153:
	global_load_b32 v0, v[0:1], off offset:24
	v_mov_b32_e32 v1, 0
	s_wait_loadcnt 0x0
	v_readfirstlane_b32 s12, v0
	global_wb scope:SCOPE_SYS
	s_wait_storecnt 0x0
	global_store_b64 v[2:3], v[0:1], off scope:SCOPE_SYS
	s_and_b32 m0, s12, 0xffffff
	s_sendmsg sendmsg(MSG_INTERRUPT)
.LBB5_154:
	s_wait_alu 0xfffe
	s_or_b32 exec_lo, exec_lo, s11
	s_branch .LBB5_158
.LBB5_155:                              ;   in Loop: Header=BB5_158 Depth=1
	s_wait_alu 0xfffe
	s_or_b32 exec_lo, exec_lo, s11
	s_delay_alu instid0(VALU_DEP_1)
	v_readfirstlane_b32 s11, v0
	s_cmp_eq_u32 s11, 0
	s_cbranch_scc1 .LBB5_157
; %bb.156:                              ;   in Loop: Header=BB5_158 Depth=1
	s_sleep 1
	s_cbranch_execnz .LBB5_158
	s_branch .LBB5_160
.LBB5_157:
	s_branch .LBB5_160
.LBB5_158:                              ; =>This Inner Loop Header: Depth=1
	v_mov_b32_e32 v0, 1
	s_and_saveexec_b32 s11, s3
	s_cbranch_execz .LBB5_155
; %bb.159:                              ;   in Loop: Header=BB5_158 Depth=1
	global_load_b32 v0, v[10:11], off offset:20 scope:SCOPE_SYS
	s_wait_loadcnt 0x0
	global_inv scope:SCOPE_SYS
	v_and_b32_e32 v0, 1, v0
	s_branch .LBB5_155
.LBB5_160:
	global_load_b64 v[0:1], v[8:9], off
	s_and_saveexec_b32 s11, s3
	s_cbranch_execz .LBB5_164
; %bb.161:
	v_mov_b32_e32 v8, 0
	s_clause 0x2
	global_load_b64 v[2:3], v8, s[6:7] offset:40
	global_load_b64 v[11:12], v8, s[6:7] offset:24 scope:SCOPE_SYS
	global_load_b64 v[4:5], v8, s[6:7]
	s_wait_loadcnt 0x2
	v_readfirstlane_b32 s12, v2
	v_readfirstlane_b32 s13, v3
	s_add_nc_u64 s[14:15], s[12:13], 1
	s_wait_alu 0xfffe
	s_add_nc_u64 s[8:9], s[14:15], s[8:9]
	s_wait_alu 0xfffe
	s_cmp_eq_u64 s[8:9], 0
	s_cselect_b32 s9, s15, s9
	s_cselect_b32 s8, s14, s8
	s_wait_alu 0xfffe
	v_mov_b32_e32 v10, s9
	s_and_b64 s[12:13], s[8:9], s[12:13]
	v_mov_b32_e32 v9, s8
	s_wait_alu 0xfffe
	s_mul_u64 s[12:13], s[12:13], 24
	s_wait_loadcnt 0x0
	s_wait_alu 0xfffe
	v_add_co_u32 v6, vcc_lo, v4, s12
	s_wait_alu 0xfffd
	v_add_co_ci_u32_e64 v7, null, s13, v5, vcc_lo
	global_store_b64 v[6:7], v[11:12], off
	global_wb scope:SCOPE_SYS
	s_wait_storecnt 0x0
	global_atomic_cmpswap_b64 v[4:5], v8, v[9:12], s[6:7] offset:24 th:TH_ATOMIC_RETURN scope:SCOPE_SYS
	s_wait_loadcnt 0x0
	v_cmp_ne_u64_e32 vcc_lo, v[4:5], v[11:12]
	s_and_b32 exec_lo, exec_lo, vcc_lo
	s_cbranch_execz .LBB5_164
; %bb.162:
	s_mov_b32 s3, 0
.LBB5_163:                              ; =>This Inner Loop Header: Depth=1
	v_dual_mov_b32 v2, s8 :: v_dual_mov_b32 v3, s9
	s_sleep 1
	global_store_b64 v[6:7], v[4:5], off
	global_wb scope:SCOPE_SYS
	s_wait_storecnt 0x0
	global_atomic_cmpswap_b64 v[2:3], v8, v[2:5], s[6:7] offset:24 th:TH_ATOMIC_RETURN scope:SCOPE_SYS
	s_wait_loadcnt 0x0
	v_cmp_eq_u64_e32 vcc_lo, v[2:3], v[4:5]
	v_dual_mov_b32 v5, v3 :: v_dual_mov_b32 v4, v2
	s_wait_alu 0xfffe
	s_or_b32 s3, vcc_lo, s3
	s_wait_alu 0xfffe
	s_and_not1_b32 exec_lo, exec_lo, s3
	s_cbranch_execnz .LBB5_163
.LBB5_164:
	s_wait_alu 0xfffe
	s_or_b32 exec_lo, exec_lo, s11
	v_readfirstlane_b32 s3, v33
	v_mov_b32_e32 v8, 0
	v_mov_b32_e32 v9, 0
	s_wait_alu 0xf1ff
	s_delay_alu instid0(VALU_DEP_3)
	v_cmp_eq_u32_e64 s3, s3, v33
	s_and_saveexec_b32 s8, s3
	s_cbranch_execz .LBB5_170
; %bb.165:
	v_mov_b32_e32 v2, 0
	s_mov_b32 s9, exec_lo
	global_load_b64 v[5:6], v2, s[6:7] offset:24 scope:SCOPE_SYS
	s_wait_loadcnt 0x0
	global_inv scope:SCOPE_SYS
	s_clause 0x1
	global_load_b64 v[3:4], v2, s[6:7] offset:40
	global_load_b64 v[7:8], v2, s[6:7]
	s_wait_loadcnt 0x1
	v_and_b32_e32 v4, v4, v6
	v_and_b32_e32 v3, v3, v5
	s_delay_alu instid0(VALU_DEP_2) | instskip(NEXT) | instid1(VALU_DEP_2)
	v_mul_lo_u32 v4, 24, v4
	v_mul_lo_u32 v9, 0, v3
	v_mul_hi_u32 v10, 24, v3
	v_mul_lo_u32 v3, 24, v3
	s_delay_alu instid0(VALU_DEP_3) | instskip(SKIP_1) | instid1(VALU_DEP_2)
	v_add_nc_u32_e32 v4, v4, v9
	s_wait_loadcnt 0x0
	v_add_co_u32 v3, vcc_lo, v7, v3
	s_delay_alu instid0(VALU_DEP_2) | instskip(SKIP_1) | instid1(VALU_DEP_1)
	v_add_nc_u32_e32 v4, v4, v10
	s_wait_alu 0xfffd
	v_add_co_ci_u32_e64 v4, null, v8, v4, vcc_lo
	global_load_b64 v[3:4], v[3:4], off scope:SCOPE_SYS
	s_wait_loadcnt 0x0
	global_atomic_cmpswap_b64 v[8:9], v2, v[3:6], s[6:7] offset:24 th:TH_ATOMIC_RETURN scope:SCOPE_SYS
	s_wait_loadcnt 0x0
	global_inv scope:SCOPE_SYS
	v_cmpx_ne_u64_e64 v[8:9], v[5:6]
	s_cbranch_execz .LBB5_169
; %bb.166:
	s_mov_b32 s11, 0
.LBB5_167:                              ; =>This Inner Loop Header: Depth=1
	s_sleep 1
	s_clause 0x1
	global_load_b64 v[3:4], v2, s[6:7] offset:40
	global_load_b64 v[10:11], v2, s[6:7]
	v_dual_mov_b32 v5, v8 :: v_dual_mov_b32 v6, v9
	s_wait_loadcnt 0x1
	s_delay_alu instid0(VALU_DEP_1) | instskip(NEXT) | instid1(VALU_DEP_2)
	v_and_b32_e32 v3, v3, v5
	v_and_b32_e32 v4, v4, v6
	s_wait_loadcnt 0x0
	s_delay_alu instid0(VALU_DEP_2) | instskip(NEXT) | instid1(VALU_DEP_1)
	v_mad_co_u64_u32 v[7:8], null, v3, 24, v[10:11]
	v_mov_b32_e32 v3, v8
	s_delay_alu instid0(VALU_DEP_1) | instskip(NEXT) | instid1(VALU_DEP_1)
	v_mad_co_u64_u32 v[3:4], null, v4, 24, v[3:4]
	v_mov_b32_e32 v8, v3
	global_load_b64 v[3:4], v[7:8], off scope:SCOPE_SYS
	s_wait_loadcnt 0x0
	global_atomic_cmpswap_b64 v[8:9], v2, v[3:6], s[6:7] offset:24 th:TH_ATOMIC_RETURN scope:SCOPE_SYS
	s_wait_loadcnt 0x0
	global_inv scope:SCOPE_SYS
	v_cmp_eq_u64_e32 vcc_lo, v[8:9], v[5:6]
	s_wait_alu 0xfffe
	s_or_b32 s11, vcc_lo, s11
	s_wait_alu 0xfffe
	s_and_not1_b32 exec_lo, exec_lo, s11
	s_cbranch_execnz .LBB5_167
; %bb.168:
	s_or_b32 exec_lo, exec_lo, s11
.LBB5_169:
	s_wait_alu 0xfffe
	s_or_b32 exec_lo, exec_lo, s9
.LBB5_170:
	s_wait_alu 0xfffe
	s_or_b32 exec_lo, exec_lo, s8
	v_readfirstlane_b32 s8, v8
	v_mov_b32_e32 v3, 0
	v_readfirstlane_b32 s9, v9
	s_mov_b32 s11, exec_lo
	s_clause 0x1
	global_load_b64 v[10:11], v3, s[6:7] offset:40
	global_load_b128 v[4:7], v3, s[6:7]
	s_wait_loadcnt 0x1
	s_wait_alu 0xf1ff
	v_and_b32_e32 v11, s9, v11
	v_and_b32_e32 v10, s8, v10
	s_delay_alu instid0(VALU_DEP_2) | instskip(NEXT) | instid1(VALU_DEP_2)
	v_mul_lo_u32 v2, 24, v11
	v_mul_lo_u32 v8, 0, v10
	v_mul_hi_u32 v9, 24, v10
	v_mul_lo_u32 v12, 24, v10
	s_delay_alu instid0(VALU_DEP_3) | instskip(SKIP_1) | instid1(VALU_DEP_2)
	v_add_nc_u32_e32 v2, v2, v8
	s_wait_loadcnt 0x0
	v_add_co_u32 v8, vcc_lo, v4, v12
	s_delay_alu instid0(VALU_DEP_2) | instskip(SKIP_1) | instid1(VALU_DEP_1)
	v_add_nc_u32_e32 v2, v2, v9
	s_wait_alu 0xfffd
	v_add_co_ci_u32_e64 v9, null, v5, v2, vcc_lo
	s_and_saveexec_b32 s12, s3
	s_cbranch_execz .LBB5_172
; %bb.171:
	s_wait_alu 0xfffe
	v_dual_mov_b32 v2, s11 :: v_dual_mov_b32 v15, 1
	v_dual_mov_b32 v14, 2 :: v_dual_mov_b32 v13, v3
	s_delay_alu instid0(VALU_DEP_2)
	v_mov_b32_e32 v12, v2
	global_store_b128 v[8:9], v[12:15], off offset:8
.LBB5_172:
	s_wait_alu 0xfffe
	s_or_b32 exec_lo, exec_lo, s12
	v_lshlrev_b64_e32 v[10:11], 12, v[10:11]
	s_mov_b32 s12, 0
	v_cndmask_b32_e64 v2, -1, v34, s2
	s_wait_alu 0xfffe
	s_mov_b32 s13, s12
	s_mov_b32 s14, s12
	;; [unrolled: 1-line block ×3, first 2 shown]
	v_add_co_u32 v6, vcc_lo, v6, v10
	s_wait_alu 0xfffd
	v_add_co_ci_u32_e64 v7, null, v7, v11, vcc_lo
	v_and_or_b32 v0, 0xffffff1f, v0, 32
	s_delay_alu instid0(VALU_DEP_3) | instskip(SKIP_1) | instid1(VALU_DEP_4)
	v_readfirstlane_b32 s16, v6
	v_add_co_u32 v6, vcc_lo, v6, v32
	v_readfirstlane_b32 s17, v7
	s_wait_alu 0xfffe
	v_dual_mov_b32 v10, s12 :: v_dual_mov_b32 v11, s13
	s_wait_alu 0xfffd
	v_add_co_ci_u32_e64 v7, null, 0, v7, vcc_lo
	v_dual_mov_b32 v12, s14 :: v_dual_mov_b32 v13, s15
	s_clause 0x3
	global_store_b128 v32, v[0:3], s[16:17]
	global_store_b128 v32, v[10:13], s[16:17] offset:16
	global_store_b128 v32, v[10:13], s[16:17] offset:32
	;; [unrolled: 1-line block ×3, first 2 shown]
	s_and_saveexec_b32 s2, s3
	s_cbranch_execz .LBB5_179
; %bb.173:
	v_mov_b32_e32 v10, 0
	s_mov_b32 s11, exec_lo
	s_clause 0x1
	global_load_b64 v[13:14], v10, s[6:7] offset:32 scope:SCOPE_SYS
	global_load_b64 v[0:1], v10, s[6:7] offset:40
	v_dual_mov_b32 v11, s8 :: v_dual_mov_b32 v12, s9
	s_wait_loadcnt 0x0
	v_and_b32_e32 v1, s9, v1
	v_and_b32_e32 v0, s8, v0
	s_delay_alu instid0(VALU_DEP_2) | instskip(NEXT) | instid1(VALU_DEP_2)
	v_mul_lo_u32 v1, 24, v1
	v_mul_lo_u32 v2, 0, v0
	v_mul_hi_u32 v3, 24, v0
	v_mul_lo_u32 v0, 24, v0
	s_delay_alu instid0(VALU_DEP_3) | instskip(NEXT) | instid1(VALU_DEP_2)
	v_add_nc_u32_e32 v1, v1, v2
	v_add_co_u32 v4, vcc_lo, v4, v0
	s_delay_alu instid0(VALU_DEP_2) | instskip(SKIP_1) | instid1(VALU_DEP_1)
	v_add_nc_u32_e32 v1, v1, v3
	s_wait_alu 0xfffd
	v_add_co_ci_u32_e64 v5, null, v5, v1, vcc_lo
	global_store_b64 v[4:5], v[13:14], off
	global_wb scope:SCOPE_SYS
	s_wait_storecnt 0x0
	global_atomic_cmpswap_b64 v[2:3], v10, v[11:14], s[6:7] offset:32 th:TH_ATOMIC_RETURN scope:SCOPE_SYS
	s_wait_loadcnt 0x0
	v_cmpx_ne_u64_e64 v[2:3], v[13:14]
	s_cbranch_execz .LBB5_175
.LBB5_174:                              ; =>This Inner Loop Header: Depth=1
	v_dual_mov_b32 v0, s8 :: v_dual_mov_b32 v1, s9
	s_sleep 1
	global_store_b64 v[4:5], v[2:3], off
	global_wb scope:SCOPE_SYS
	s_wait_storecnt 0x0
	global_atomic_cmpswap_b64 v[0:1], v10, v[0:3], s[6:7] offset:32 th:TH_ATOMIC_RETURN scope:SCOPE_SYS
	s_wait_loadcnt 0x0
	v_cmp_eq_u64_e32 vcc_lo, v[0:1], v[2:3]
	v_dual_mov_b32 v3, v1 :: v_dual_mov_b32 v2, v0
	s_or_b32 s12, vcc_lo, s12
	s_wait_alu 0xfffe
	s_and_not1_b32 exec_lo, exec_lo, s12
	s_cbranch_execnz .LBB5_174
.LBB5_175:
	s_wait_alu 0xfffe
	s_or_b32 exec_lo, exec_lo, s11
	v_mov_b32_e32 v3, 0
	s_mov_b32 s12, exec_lo
	s_mov_b32 s11, exec_lo
	s_wait_alu 0xfffe
	v_mbcnt_lo_u32_b32 v2, s12, 0
	global_load_b64 v[0:1], v3, s[6:7] offset:16
	v_cmpx_eq_u32_e32 0, v2
	s_cbranch_execz .LBB5_177
; %bb.176:
	s_bcnt1_i32_b32 s12, s12
	s_wait_alu 0xfffe
	v_mov_b32_e32 v2, s12
	global_wb scope:SCOPE_SYS
	s_wait_loadcnt 0x0
	s_wait_storecnt 0x0
	global_atomic_add_u64 v[0:1], v[2:3], off offset:8 scope:SCOPE_SYS
.LBB5_177:
	s_or_b32 exec_lo, exec_lo, s11
	s_wait_loadcnt 0x0
	global_load_b64 v[2:3], v[0:1], off offset:16
	s_wait_loadcnt 0x0
	v_cmp_eq_u64_e32 vcc_lo, 0, v[2:3]
	s_cbranch_vccnz .LBB5_179
; %bb.178:
	global_load_b32 v0, v[0:1], off offset:24
	v_mov_b32_e32 v1, 0
	s_wait_loadcnt 0x0
	v_readfirstlane_b32 s11, v0
	global_wb scope:SCOPE_SYS
	s_wait_storecnt 0x0
	global_store_b64 v[2:3], v[0:1], off scope:SCOPE_SYS
	s_and_b32 m0, s11, 0xffffff
	s_sendmsg sendmsg(MSG_INTERRUPT)
.LBB5_179:
	s_wait_alu 0xfffe
	s_or_b32 exec_lo, exec_lo, s2
	s_branch .LBB5_183
.LBB5_180:                              ;   in Loop: Header=BB5_183 Depth=1
	s_wait_alu 0xfffe
	s_or_b32 exec_lo, exec_lo, s2
	s_delay_alu instid0(VALU_DEP_1)
	v_readfirstlane_b32 s2, v0
	s_cmp_eq_u32 s2, 0
	s_cbranch_scc1 .LBB5_182
; %bb.181:                              ;   in Loop: Header=BB5_183 Depth=1
	s_sleep 1
	s_cbranch_execnz .LBB5_183
	s_branch .LBB5_185
.LBB5_182:
	s_branch .LBB5_185
.LBB5_183:                              ; =>This Inner Loop Header: Depth=1
	v_mov_b32_e32 v0, 1
	s_and_saveexec_b32 s2, s3
	s_cbranch_execz .LBB5_180
; %bb.184:                              ;   in Loop: Header=BB5_183 Depth=1
	global_load_b32 v0, v[8:9], off offset:20 scope:SCOPE_SYS
	s_wait_loadcnt 0x0
	global_inv scope:SCOPE_SYS
	v_and_b32_e32 v0, 1, v0
	s_branch .LBB5_180
.LBB5_185:
	global_load_b64 v[0:1], v[6:7], off
	s_and_saveexec_b32 s11, s3
	s_cbranch_execz .LBB5_189
; %bb.186:
	v_mov_b32_e32 v8, 0
	s_clause 0x2
	global_load_b64 v[2:3], v8, s[6:7] offset:40
	global_load_b64 v[11:12], v8, s[6:7] offset:24 scope:SCOPE_SYS
	global_load_b64 v[4:5], v8, s[6:7]
	s_wait_loadcnt 0x2
	v_readfirstlane_b32 s12, v2
	v_readfirstlane_b32 s13, v3
	s_add_nc_u64 s[2:3], s[12:13], 1
	s_wait_alu 0xfffe
	s_add_nc_u64 s[8:9], s[2:3], s[8:9]
	s_wait_alu 0xfffe
	s_cmp_eq_u64 s[8:9], 0
	s_cselect_b32 s3, s3, s9
	s_cselect_b32 s2, s2, s8
	s_wait_alu 0xfffe
	v_mov_b32_e32 v10, s3
	s_and_b64 s[8:9], s[2:3], s[12:13]
	v_mov_b32_e32 v9, s2
	s_wait_alu 0xfffe
	s_mul_u64 s[8:9], s[8:9], 24
	s_wait_loadcnt 0x0
	s_wait_alu 0xfffe
	v_add_co_u32 v6, vcc_lo, v4, s8
	s_wait_alu 0xfffd
	v_add_co_ci_u32_e64 v7, null, s9, v5, vcc_lo
	global_store_b64 v[6:7], v[11:12], off
	global_wb scope:SCOPE_SYS
	s_wait_storecnt 0x0
	global_atomic_cmpswap_b64 v[4:5], v8, v[9:12], s[6:7] offset:24 th:TH_ATOMIC_RETURN scope:SCOPE_SYS
	s_wait_loadcnt 0x0
	v_cmp_ne_u64_e32 vcc_lo, v[4:5], v[11:12]
	s_and_b32 exec_lo, exec_lo, vcc_lo
	s_cbranch_execz .LBB5_189
; %bb.187:
	s_mov_b32 s8, 0
.LBB5_188:                              ; =>This Inner Loop Header: Depth=1
	v_dual_mov_b32 v2, s2 :: v_dual_mov_b32 v3, s3
	s_sleep 1
	global_store_b64 v[6:7], v[4:5], off
	global_wb scope:SCOPE_SYS
	s_wait_storecnt 0x0
	global_atomic_cmpswap_b64 v[2:3], v8, v[2:5], s[6:7] offset:24 th:TH_ATOMIC_RETURN scope:SCOPE_SYS
	s_wait_loadcnt 0x0
	v_cmp_eq_u64_e32 vcc_lo, v[2:3], v[4:5]
	v_dual_mov_b32 v5, v3 :: v_dual_mov_b32 v4, v2
	s_wait_alu 0xfffe
	s_or_b32 s8, vcc_lo, s8
	s_wait_alu 0xfffe
	s_and_not1_b32 exec_lo, exec_lo, s8
	s_cbranch_execnz .LBB5_188
.LBB5_189:
	s_wait_alu 0xfffe
	s_or_b32 exec_lo, exec_lo, s11
	v_readfirstlane_b32 s2, v33
	v_mov_b32_e32 v8, 0
	v_mov_b32_e32 v9, 0
	s_wait_alu 0xf1ff
	s_delay_alu instid0(VALU_DEP_3)
	v_cmp_eq_u32_e64 s2, s2, v33
	s_and_saveexec_b32 s3, s2
	s_cbranch_execz .LBB5_195
; %bb.190:
	v_mov_b32_e32 v2, 0
	s_mov_b32 s8, exec_lo
	global_load_b64 v[5:6], v2, s[6:7] offset:24 scope:SCOPE_SYS
	s_wait_loadcnt 0x0
	global_inv scope:SCOPE_SYS
	s_clause 0x1
	global_load_b64 v[3:4], v2, s[6:7] offset:40
	global_load_b64 v[7:8], v2, s[6:7]
	s_wait_loadcnt 0x1
	v_and_b32_e32 v4, v4, v6
	v_and_b32_e32 v3, v3, v5
	s_delay_alu instid0(VALU_DEP_2) | instskip(NEXT) | instid1(VALU_DEP_2)
	v_mul_lo_u32 v4, 24, v4
	v_mul_lo_u32 v9, 0, v3
	v_mul_hi_u32 v10, 24, v3
	v_mul_lo_u32 v3, 24, v3
	s_delay_alu instid0(VALU_DEP_3) | instskip(SKIP_1) | instid1(VALU_DEP_2)
	v_add_nc_u32_e32 v4, v4, v9
	s_wait_loadcnt 0x0
	v_add_co_u32 v3, vcc_lo, v7, v3
	s_delay_alu instid0(VALU_DEP_2) | instskip(SKIP_1) | instid1(VALU_DEP_1)
	v_add_nc_u32_e32 v4, v4, v10
	s_wait_alu 0xfffd
	v_add_co_ci_u32_e64 v4, null, v8, v4, vcc_lo
	global_load_b64 v[3:4], v[3:4], off scope:SCOPE_SYS
	s_wait_loadcnt 0x0
	global_atomic_cmpswap_b64 v[8:9], v2, v[3:6], s[6:7] offset:24 th:TH_ATOMIC_RETURN scope:SCOPE_SYS
	s_wait_loadcnt 0x0
	global_inv scope:SCOPE_SYS
	v_cmpx_ne_u64_e64 v[8:9], v[5:6]
	s_cbranch_execz .LBB5_194
; %bb.191:
	s_mov_b32 s9, 0
.LBB5_192:                              ; =>This Inner Loop Header: Depth=1
	s_sleep 1
	s_clause 0x1
	global_load_b64 v[3:4], v2, s[6:7] offset:40
	global_load_b64 v[10:11], v2, s[6:7]
	v_dual_mov_b32 v5, v8 :: v_dual_mov_b32 v6, v9
	s_wait_loadcnt 0x1
	s_delay_alu instid0(VALU_DEP_1) | instskip(NEXT) | instid1(VALU_DEP_2)
	v_and_b32_e32 v3, v3, v5
	v_and_b32_e32 v4, v4, v6
	s_wait_loadcnt 0x0
	s_delay_alu instid0(VALU_DEP_2) | instskip(NEXT) | instid1(VALU_DEP_1)
	v_mad_co_u64_u32 v[7:8], null, v3, 24, v[10:11]
	v_mov_b32_e32 v3, v8
	s_delay_alu instid0(VALU_DEP_1) | instskip(NEXT) | instid1(VALU_DEP_1)
	v_mad_co_u64_u32 v[3:4], null, v4, 24, v[3:4]
	v_mov_b32_e32 v8, v3
	global_load_b64 v[3:4], v[7:8], off scope:SCOPE_SYS
	s_wait_loadcnt 0x0
	global_atomic_cmpswap_b64 v[8:9], v2, v[3:6], s[6:7] offset:24 th:TH_ATOMIC_RETURN scope:SCOPE_SYS
	s_wait_loadcnt 0x0
	global_inv scope:SCOPE_SYS
	v_cmp_eq_u64_e32 vcc_lo, v[8:9], v[5:6]
	s_wait_alu 0xfffe
	s_or_b32 s9, vcc_lo, s9
	s_wait_alu 0xfffe
	s_and_not1_b32 exec_lo, exec_lo, s9
	s_cbranch_execnz .LBB5_192
; %bb.193:
	s_or_b32 exec_lo, exec_lo, s9
.LBB5_194:
	s_wait_alu 0xfffe
	s_or_b32 exec_lo, exec_lo, s8
.LBB5_195:
	s_wait_alu 0xfffe
	s_or_b32 exec_lo, exec_lo, s3
	v_readfirstlane_b32 s8, v8
	v_mov_b32_e32 v3, 0
	v_readfirstlane_b32 s9, v9
	s_mov_b32 s3, exec_lo
	s_clause 0x1
	global_load_b64 v[10:11], v3, s[6:7] offset:40
	global_load_b128 v[4:7], v3, s[6:7]
	s_wait_loadcnt 0x1
	s_wait_alu 0xf1ff
	v_and_b32_e32 v11, s9, v11
	v_and_b32_e32 v10, s8, v10
	s_delay_alu instid0(VALU_DEP_2) | instskip(NEXT) | instid1(VALU_DEP_2)
	v_mul_lo_u32 v2, 24, v11
	v_mul_lo_u32 v8, 0, v10
	v_mul_hi_u32 v9, 24, v10
	v_mul_lo_u32 v12, 24, v10
	s_delay_alu instid0(VALU_DEP_3) | instskip(SKIP_1) | instid1(VALU_DEP_2)
	v_add_nc_u32_e32 v2, v2, v8
	s_wait_loadcnt 0x0
	v_add_co_u32 v8, vcc_lo, v4, v12
	s_delay_alu instid0(VALU_DEP_2) | instskip(SKIP_1) | instid1(VALU_DEP_1)
	v_add_nc_u32_e32 v2, v2, v9
	s_wait_alu 0xfffd
	v_add_co_ci_u32_e64 v9, null, v5, v2, vcc_lo
	s_and_saveexec_b32 s11, s2
	s_cbranch_execz .LBB5_197
; %bb.196:
	s_wait_alu 0xfffe
	v_dual_mov_b32 v2, s3 :: v_dual_mov_b32 v15, 1
	v_dual_mov_b32 v14, 2 :: v_dual_mov_b32 v13, v3
	s_delay_alu instid0(VALU_DEP_2)
	v_mov_b32_e32 v12, v2
	global_store_b128 v[8:9], v[12:15], off offset:8
.LBB5_197:
	s_wait_alu 0xfffe
	s_or_b32 exec_lo, exec_lo, s11
	v_lshlrev_b64_e32 v[10:11], 12, v[10:11]
	s_mul_i32 s10, s10, s20
	s_mov_b32 s12, 0
	s_wait_alu 0xfffe
	s_lshr_b32 s3, s10, 1
	s_mov_b32 s13, s12
	s_mov_b32 s14, s12
	v_add_co_u32 v6, vcc_lo, v6, v10
	s_wait_alu 0xfffd
	v_add_co_ci_u32_e64 v7, null, v7, v11, vcc_lo
	s_mov_b32 s15, s12
	v_and_or_b32 v0, 0xffffff1d, v0, 34
	s_wait_alu 0xfffe
	v_mov_b32_e32 v2, s3
	v_readfirstlane_b32 s10, v6
	v_readfirstlane_b32 s11, v7
	v_dual_mov_b32 v10, s12 :: v_dual_mov_b32 v13, s15
	v_dual_mov_b32 v11, s13 :: v_dual_mov_b32 v12, s14
	s_clause 0x3
	global_store_b128 v32, v[0:3], s[10:11]
	global_store_b128 v32, v[10:13], s[10:11] offset:16
	global_store_b128 v32, v[10:13], s[10:11] offset:32
	;; [unrolled: 1-line block ×3, first 2 shown]
	s_and_saveexec_b32 s3, s2
	s_cbranch_execz .LBB5_205
; %bb.198:
	v_mov_b32_e32 v6, 0
	s_mov_b32 s10, exec_lo
	s_clause 0x1
	global_load_b64 v[12:13], v6, s[6:7] offset:32 scope:SCOPE_SYS
	global_load_b64 v[0:1], v6, s[6:7] offset:40
	v_dual_mov_b32 v11, s9 :: v_dual_mov_b32 v10, s8
	s_wait_loadcnt 0x0
	v_and_b32_e32 v1, s9, v1
	v_and_b32_e32 v0, s8, v0
	s_delay_alu instid0(VALU_DEP_2) | instskip(NEXT) | instid1(VALU_DEP_2)
	v_mul_lo_u32 v1, 24, v1
	v_mul_lo_u32 v2, 0, v0
	v_mul_hi_u32 v3, 24, v0
	v_mul_lo_u32 v0, 24, v0
	s_delay_alu instid0(VALU_DEP_3) | instskip(NEXT) | instid1(VALU_DEP_2)
	v_add_nc_u32_e32 v1, v1, v2
	v_add_co_u32 v4, vcc_lo, v4, v0
	s_delay_alu instid0(VALU_DEP_2) | instskip(SKIP_1) | instid1(VALU_DEP_1)
	v_add_nc_u32_e32 v1, v1, v3
	s_wait_alu 0xfffd
	v_add_co_ci_u32_e64 v5, null, v5, v1, vcc_lo
	global_store_b64 v[4:5], v[12:13], off
	global_wb scope:SCOPE_SYS
	s_wait_storecnt 0x0
	global_atomic_cmpswap_b64 v[2:3], v6, v[10:13], s[6:7] offset:32 th:TH_ATOMIC_RETURN scope:SCOPE_SYS
	s_wait_loadcnt 0x0
	v_cmpx_ne_u64_e64 v[2:3], v[12:13]
	s_cbranch_execz .LBB5_201
; %bb.199:
	s_mov_b32 s11, 0
.LBB5_200:                              ; =>This Inner Loop Header: Depth=1
	v_dual_mov_b32 v0, s8 :: v_dual_mov_b32 v1, s9
	s_sleep 1
	global_store_b64 v[4:5], v[2:3], off
	global_wb scope:SCOPE_SYS
	s_wait_storecnt 0x0
	global_atomic_cmpswap_b64 v[0:1], v6, v[0:3], s[6:7] offset:32 th:TH_ATOMIC_RETURN scope:SCOPE_SYS
	s_wait_loadcnt 0x0
	v_cmp_eq_u64_e32 vcc_lo, v[0:1], v[2:3]
	v_dual_mov_b32 v3, v1 :: v_dual_mov_b32 v2, v0
	s_wait_alu 0xfffe
	s_or_b32 s11, vcc_lo, s11
	s_wait_alu 0xfffe
	s_and_not1_b32 exec_lo, exec_lo, s11
	s_cbranch_execnz .LBB5_200
.LBB5_201:
	s_wait_alu 0xfffe
	s_or_b32 exec_lo, exec_lo, s10
	v_mov_b32_e32 v3, 0
	s_mov_b32 s11, exec_lo
	s_mov_b32 s10, exec_lo
	s_wait_alu 0xfffe
	v_mbcnt_lo_u32_b32 v2, s11, 0
	global_load_b64 v[0:1], v3, s[6:7] offset:16
	v_cmpx_eq_u32_e32 0, v2
	s_cbranch_execz .LBB5_203
; %bb.202:
	s_bcnt1_i32_b32 s11, s11
	s_wait_alu 0xfffe
	v_mov_b32_e32 v2, s11
	global_wb scope:SCOPE_SYS
	s_wait_loadcnt 0x0
	s_wait_storecnt 0x0
	global_atomic_add_u64 v[0:1], v[2:3], off offset:8 scope:SCOPE_SYS
.LBB5_203:
	s_or_b32 exec_lo, exec_lo, s10
	s_wait_loadcnt 0x0
	global_load_b64 v[2:3], v[0:1], off offset:16
	s_wait_loadcnt 0x0
	v_cmp_eq_u64_e32 vcc_lo, 0, v[2:3]
	s_cbranch_vccnz .LBB5_205
; %bb.204:
	global_load_b32 v0, v[0:1], off offset:24
	v_mov_b32_e32 v1, 0
	s_wait_loadcnt 0x0
	v_readfirstlane_b32 s10, v0
	global_wb scope:SCOPE_SYS
	s_wait_storecnt 0x0
	global_store_b64 v[2:3], v[0:1], off scope:SCOPE_SYS
	s_and_b32 m0, s10, 0xffffff
	s_sendmsg sendmsg(MSG_INTERRUPT)
.LBB5_205:
	s_wait_alu 0xfffe
	s_or_b32 exec_lo, exec_lo, s3
	s_branch .LBB5_209
.LBB5_206:                              ;   in Loop: Header=BB5_209 Depth=1
	s_wait_alu 0xfffe
	s_or_b32 exec_lo, exec_lo, s3
	s_delay_alu instid0(VALU_DEP_1)
	v_readfirstlane_b32 s3, v0
	s_cmp_eq_u32 s3, 0
	s_cbranch_scc1 .LBB5_208
; %bb.207:                              ;   in Loop: Header=BB5_209 Depth=1
	s_sleep 1
	s_cbranch_execnz .LBB5_209
	s_branch .LBB5_211
.LBB5_208:
	s_branch .LBB5_211
.LBB5_209:                              ; =>This Inner Loop Header: Depth=1
	v_mov_b32_e32 v0, 1
	s_and_saveexec_b32 s3, s2
	s_cbranch_execz .LBB5_206
; %bb.210:                              ;   in Loop: Header=BB5_209 Depth=1
	global_load_b32 v0, v[8:9], off offset:20 scope:SCOPE_SYS
	s_wait_loadcnt 0x0
	global_inv scope:SCOPE_SYS
	v_and_b32_e32 v0, 1, v0
	s_branch .LBB5_206
.LBB5_211:
	s_and_saveexec_b32 s10, s2
	s_cbranch_execz .LBB5_215
; %bb.212:
	v_mov_b32_e32 v6, 0
	s_clause 0x2
	global_load_b64 v[0:1], v6, s[6:7] offset:40
	global_load_b64 v[9:10], v6, s[6:7] offset:24 scope:SCOPE_SYS
	global_load_b64 v[2:3], v6, s[6:7]
	s_wait_loadcnt 0x2
	v_readfirstlane_b32 s12, v0
	v_readfirstlane_b32 s13, v1
	s_add_nc_u64 s[2:3], s[12:13], 1
	s_wait_alu 0xfffe
	s_add_nc_u64 s[8:9], s[2:3], s[8:9]
	s_wait_alu 0xfffe
	s_cmp_eq_u64 s[8:9], 0
	s_cselect_b32 s3, s3, s9
	s_cselect_b32 s2, s2, s8
	s_wait_alu 0xfffe
	v_mov_b32_e32 v8, s3
	s_and_b64 s[8:9], s[2:3], s[12:13]
	v_mov_b32_e32 v7, s2
	s_wait_alu 0xfffe
	s_mul_u64 s[8:9], s[8:9], 24
	s_wait_loadcnt 0x0
	s_wait_alu 0xfffe
	v_add_co_u32 v4, vcc_lo, v2, s8
	s_wait_alu 0xfffd
	v_add_co_ci_u32_e64 v5, null, s9, v3, vcc_lo
	global_store_b64 v[4:5], v[9:10], off
	global_wb scope:SCOPE_SYS
	s_wait_storecnt 0x0
	global_atomic_cmpswap_b64 v[2:3], v6, v[7:10], s[6:7] offset:24 th:TH_ATOMIC_RETURN scope:SCOPE_SYS
	s_wait_loadcnt 0x0
	v_cmp_ne_u64_e32 vcc_lo, v[2:3], v[9:10]
	s_and_b32 exec_lo, exec_lo, vcc_lo
	s_cbranch_execz .LBB5_215
; %bb.213:
	s_mov_b32 s8, 0
.LBB5_214:                              ; =>This Inner Loop Header: Depth=1
	v_dual_mov_b32 v0, s2 :: v_dual_mov_b32 v1, s3
	s_sleep 1
	global_store_b64 v[4:5], v[2:3], off
	global_wb scope:SCOPE_SYS
	s_wait_storecnt 0x0
	global_atomic_cmpswap_b64 v[0:1], v6, v[0:3], s[6:7] offset:24 th:TH_ATOMIC_RETURN scope:SCOPE_SYS
	s_wait_loadcnt 0x0
	v_cmp_eq_u64_e32 vcc_lo, v[0:1], v[2:3]
	v_dual_mov_b32 v3, v1 :: v_dual_mov_b32 v2, v0
	s_wait_alu 0xfffe
	s_or_b32 s8, vcc_lo, s8
	s_wait_alu 0xfffe
	s_and_not1_b32 exec_lo, exec_lo, s8
	s_cbranch_execnz .LBB5_214
.LBB5_215:
	s_wait_alu 0xfffe
	s_or_b32 exec_lo, exec_lo, s10
	v_readfirstlane_b32 s2, v33
	v_mov_b32_e32 v6, 0
	v_mov_b32_e32 v7, 0
	s_wait_alu 0xf1ff
	s_delay_alu instid0(VALU_DEP_3)
	v_cmp_eq_u32_e64 s2, s2, v33
	s_and_saveexec_b32 s3, s2
	s_cbranch_execz .LBB5_221
; %bb.216:
	v_mov_b32_e32 v0, 0
	s_mov_b32 s8, exec_lo
	global_load_b64 v[3:4], v0, s[6:7] offset:24 scope:SCOPE_SYS
	s_wait_loadcnt 0x0
	global_inv scope:SCOPE_SYS
	s_clause 0x1
	global_load_b64 v[1:2], v0, s[6:7] offset:40
	global_load_b64 v[5:6], v0, s[6:7]
	s_wait_loadcnt 0x1
	v_and_b32_e32 v2, v2, v4
	v_and_b32_e32 v1, v1, v3
	s_delay_alu instid0(VALU_DEP_2) | instskip(NEXT) | instid1(VALU_DEP_2)
	v_mul_lo_u32 v2, 24, v2
	v_mul_lo_u32 v7, 0, v1
	v_mul_hi_u32 v8, 24, v1
	v_mul_lo_u32 v1, 24, v1
	s_delay_alu instid0(VALU_DEP_3) | instskip(SKIP_1) | instid1(VALU_DEP_2)
	v_add_nc_u32_e32 v2, v2, v7
	s_wait_loadcnt 0x0
	v_add_co_u32 v1, vcc_lo, v5, v1
	s_delay_alu instid0(VALU_DEP_2) | instskip(SKIP_1) | instid1(VALU_DEP_1)
	v_add_nc_u32_e32 v2, v2, v8
	s_wait_alu 0xfffd
	v_add_co_ci_u32_e64 v2, null, v6, v2, vcc_lo
	global_load_b64 v[1:2], v[1:2], off scope:SCOPE_SYS
	s_wait_loadcnt 0x0
	global_atomic_cmpswap_b64 v[6:7], v0, v[1:4], s[6:7] offset:24 th:TH_ATOMIC_RETURN scope:SCOPE_SYS
	s_wait_loadcnt 0x0
	global_inv scope:SCOPE_SYS
	v_cmpx_ne_u64_e64 v[6:7], v[3:4]
	s_cbranch_execz .LBB5_220
; %bb.217:
	s_mov_b32 s9, 0
.LBB5_218:                              ; =>This Inner Loop Header: Depth=1
	s_sleep 1
	s_clause 0x1
	global_load_b64 v[1:2], v0, s[6:7] offset:40
	global_load_b64 v[8:9], v0, s[6:7]
	v_dual_mov_b32 v3, v6 :: v_dual_mov_b32 v4, v7
	s_wait_loadcnt 0x1
	s_delay_alu instid0(VALU_DEP_1) | instskip(NEXT) | instid1(VALU_DEP_2)
	v_and_b32_e32 v1, v1, v3
	v_and_b32_e32 v2, v2, v4
	s_wait_loadcnt 0x0
	s_delay_alu instid0(VALU_DEP_2) | instskip(NEXT) | instid1(VALU_DEP_1)
	v_mad_co_u64_u32 v[5:6], null, v1, 24, v[8:9]
	v_mov_b32_e32 v1, v6
	s_delay_alu instid0(VALU_DEP_1) | instskip(NEXT) | instid1(VALU_DEP_1)
	v_mad_co_u64_u32 v[1:2], null, v2, 24, v[1:2]
	v_mov_b32_e32 v6, v1
	global_load_b64 v[1:2], v[5:6], off scope:SCOPE_SYS
	s_wait_loadcnt 0x0
	global_atomic_cmpswap_b64 v[6:7], v0, v[1:4], s[6:7] offset:24 th:TH_ATOMIC_RETURN scope:SCOPE_SYS
	s_wait_loadcnt 0x0
	global_inv scope:SCOPE_SYS
	v_cmp_eq_u64_e32 vcc_lo, v[6:7], v[3:4]
	s_wait_alu 0xfffe
	s_or_b32 s9, vcc_lo, s9
	s_wait_alu 0xfffe
	s_and_not1_b32 exec_lo, exec_lo, s9
	s_cbranch_execnz .LBB5_218
; %bb.219:
	s_or_b32 exec_lo, exec_lo, s9
.LBB5_220:
	s_wait_alu 0xfffe
	s_or_b32 exec_lo, exec_lo, s8
.LBB5_221:
	s_wait_alu 0xfffe
	s_or_b32 exec_lo, exec_lo, s3
	v_readfirstlane_b32 s8, v6
	v_mov_b32_e32 v5, 0
	v_readfirstlane_b32 s9, v7
	s_mov_b32 s3, exec_lo
	s_clause 0x1
	global_load_b64 v[8:9], v5, s[6:7] offset:40
	global_load_b128 v[0:3], v5, s[6:7]
	s_wait_loadcnt 0x1
	s_wait_alu 0xf1ff
	v_and_b32_e32 v11, s9, v9
	v_and_b32_e32 v10, s8, v8
	s_delay_alu instid0(VALU_DEP_2) | instskip(NEXT) | instid1(VALU_DEP_2)
	v_mul_lo_u32 v4, 24, v11
	v_mul_lo_u32 v6, 0, v10
	v_mul_hi_u32 v7, 24, v10
	v_mul_lo_u32 v8, 24, v10
	s_delay_alu instid0(VALU_DEP_3) | instskip(SKIP_1) | instid1(VALU_DEP_2)
	v_add_nc_u32_e32 v4, v4, v6
	s_wait_loadcnt 0x0
	v_add_co_u32 v8, vcc_lo, v0, v8
	s_delay_alu instid0(VALU_DEP_2) | instskip(SKIP_1) | instid1(VALU_DEP_1)
	v_add_nc_u32_e32 v4, v4, v7
	s_wait_alu 0xfffd
	v_add_co_ci_u32_e64 v9, null, v1, v4, vcc_lo
	s_and_saveexec_b32 s10, s2
	s_cbranch_execz .LBB5_223
; %bb.222:
	s_wait_alu 0xfffe
	v_dual_mov_b32 v4, s3 :: v_dual_mov_b32 v7, 1
	v_mov_b32_e32 v6, 2
	global_store_b128 v[8:9], v[4:7], off offset:8
.LBB5_223:
	s_wait_alu 0xfffe
	s_or_b32 exec_lo, exec_lo, s10
	v_lshlrev_b64_e32 v[10:11], 12, v[10:11]
	s_mov_b32 s12, 0
	v_dual_mov_b32 v4, 33 :: v_dual_mov_b32 v7, v5
	s_wait_alu 0xfffe
	s_mov_b32 s13, s12
	s_mov_b32 s14, s12
	v_add_co_u32 v2, vcc_lo, v2, v10
	s_wait_alu 0xfffd
	v_add_co_ci_u32_e64 v3, null, v3, v11, vcc_lo
	s_mov_b32 s15, s12
	v_add_co_u32 v10, vcc_lo, v2, v32
	v_mov_b32_e32 v6, v5
	v_readfirstlane_b32 s10, v2
	v_readfirstlane_b32 s11, v3
	s_wait_alu 0xfffe
	v_dual_mov_b32 v12, s12 :: v_dual_mov_b32 v15, s15
	s_wait_alu 0xfffd
	v_add_co_ci_u32_e64 v11, null, 0, v3, vcc_lo
	v_dual_mov_b32 v13, s13 :: v_dual_mov_b32 v14, s14
	s_clause 0x3
	global_store_b128 v32, v[4:7], s[10:11]
	global_store_b128 v32, v[12:15], s[10:11] offset:16
	global_store_b128 v32, v[12:15], s[10:11] offset:32
	;; [unrolled: 1-line block ×3, first 2 shown]
	s_and_saveexec_b32 s3, s2
	s_cbranch_execz .LBB5_231
; %bb.224:
	v_mov_b32_e32 v6, 0
	s_mov_b32 s10, exec_lo
	s_clause 0x1
	global_load_b64 v[14:15], v6, s[6:7] offset:32 scope:SCOPE_SYS
	global_load_b64 v[2:3], v6, s[6:7] offset:40
	v_dual_mov_b32 v13, s9 :: v_dual_mov_b32 v12, s8
	s_wait_loadcnt 0x0
	v_and_b32_e32 v3, s9, v3
	v_and_b32_e32 v2, s8, v2
	s_delay_alu instid0(VALU_DEP_2) | instskip(NEXT) | instid1(VALU_DEP_2)
	v_mul_lo_u32 v3, 24, v3
	v_mul_lo_u32 v4, 0, v2
	v_mul_hi_u32 v5, 24, v2
	v_mul_lo_u32 v2, 24, v2
	s_delay_alu instid0(VALU_DEP_3) | instskip(NEXT) | instid1(VALU_DEP_2)
	v_add_nc_u32_e32 v3, v3, v4
	v_add_co_u32 v4, vcc_lo, v0, v2
	s_delay_alu instid0(VALU_DEP_2) | instskip(SKIP_1) | instid1(VALU_DEP_1)
	v_add_nc_u32_e32 v3, v3, v5
	s_wait_alu 0xfffd
	v_add_co_ci_u32_e64 v5, null, v1, v3, vcc_lo
	global_store_b64 v[4:5], v[14:15], off
	global_wb scope:SCOPE_SYS
	s_wait_storecnt 0x0
	global_atomic_cmpswap_b64 v[2:3], v6, v[12:15], s[6:7] offset:32 th:TH_ATOMIC_RETURN scope:SCOPE_SYS
	s_wait_loadcnt 0x0
	v_cmpx_ne_u64_e64 v[2:3], v[14:15]
	s_cbranch_execz .LBB5_227
; %bb.225:
	s_mov_b32 s11, 0
.LBB5_226:                              ; =>This Inner Loop Header: Depth=1
	v_dual_mov_b32 v0, s8 :: v_dual_mov_b32 v1, s9
	s_sleep 1
	global_store_b64 v[4:5], v[2:3], off
	global_wb scope:SCOPE_SYS
	s_wait_storecnt 0x0
	global_atomic_cmpswap_b64 v[0:1], v6, v[0:3], s[6:7] offset:32 th:TH_ATOMIC_RETURN scope:SCOPE_SYS
	s_wait_loadcnt 0x0
	v_cmp_eq_u64_e32 vcc_lo, v[0:1], v[2:3]
	v_dual_mov_b32 v3, v1 :: v_dual_mov_b32 v2, v0
	s_wait_alu 0xfffe
	s_or_b32 s11, vcc_lo, s11
	s_wait_alu 0xfffe
	s_and_not1_b32 exec_lo, exec_lo, s11
	s_cbranch_execnz .LBB5_226
.LBB5_227:
	s_wait_alu 0xfffe
	s_or_b32 exec_lo, exec_lo, s10
	v_mov_b32_e32 v3, 0
	s_mov_b32 s11, exec_lo
	s_mov_b32 s10, exec_lo
	s_wait_alu 0xfffe
	v_mbcnt_lo_u32_b32 v2, s11, 0
	global_load_b64 v[0:1], v3, s[6:7] offset:16
	v_cmpx_eq_u32_e32 0, v2
	s_cbranch_execz .LBB5_229
; %bb.228:
	s_bcnt1_i32_b32 s11, s11
	s_wait_alu 0xfffe
	v_mov_b32_e32 v2, s11
	global_wb scope:SCOPE_SYS
	s_wait_loadcnt 0x0
	s_wait_storecnt 0x0
	global_atomic_add_u64 v[0:1], v[2:3], off offset:8 scope:SCOPE_SYS
.LBB5_229:
	s_or_b32 exec_lo, exec_lo, s10
	s_wait_loadcnt 0x0
	global_load_b64 v[2:3], v[0:1], off offset:16
	s_wait_loadcnt 0x0
	v_cmp_eq_u64_e32 vcc_lo, 0, v[2:3]
	s_cbranch_vccnz .LBB5_231
; %bb.230:
	global_load_b32 v0, v[0:1], off offset:24
	v_mov_b32_e32 v1, 0
	s_wait_loadcnt 0x0
	v_readfirstlane_b32 s10, v0
	global_wb scope:SCOPE_SYS
	s_wait_storecnt 0x0
	global_store_b64 v[2:3], v[0:1], off scope:SCOPE_SYS
	s_and_b32 m0, s10, 0xffffff
	s_sendmsg sendmsg(MSG_INTERRUPT)
.LBB5_231:
	s_wait_alu 0xfffe
	s_or_b32 exec_lo, exec_lo, s3
	s_branch .LBB5_235
.LBB5_232:                              ;   in Loop: Header=BB5_235 Depth=1
	s_wait_alu 0xfffe
	s_or_b32 exec_lo, exec_lo, s3
	s_delay_alu instid0(VALU_DEP_1)
	v_readfirstlane_b32 s3, v0
	s_cmp_eq_u32 s3, 0
	s_cbranch_scc1 .LBB5_234
; %bb.233:                              ;   in Loop: Header=BB5_235 Depth=1
	s_sleep 1
	s_cbranch_execnz .LBB5_235
	s_branch .LBB5_237
.LBB5_234:
	s_branch .LBB5_237
.LBB5_235:                              ; =>This Inner Loop Header: Depth=1
	v_mov_b32_e32 v0, 1
	s_and_saveexec_b32 s3, s2
	s_cbranch_execz .LBB5_232
; %bb.236:                              ;   in Loop: Header=BB5_235 Depth=1
	global_load_b32 v0, v[8:9], off offset:20 scope:SCOPE_SYS
	s_wait_loadcnt 0x0
	global_inv scope:SCOPE_SYS
	v_and_b32_e32 v0, 1, v0
	s_branch .LBB5_232
.LBB5_237:
	global_load_b64 v[0:1], v[10:11], off
	s_and_saveexec_b32 s10, s2
	s_cbranch_execz .LBB5_241
; %bb.238:
	v_mov_b32_e32 v8, 0
	s_clause 0x2
	global_load_b64 v[2:3], v8, s[6:7] offset:40
	global_load_b64 v[11:12], v8, s[6:7] offset:24 scope:SCOPE_SYS
	global_load_b64 v[4:5], v8, s[6:7]
	s_wait_loadcnt 0x2
	v_readfirstlane_b32 s12, v2
	v_readfirstlane_b32 s13, v3
	s_add_nc_u64 s[2:3], s[12:13], 1
	s_wait_alu 0xfffe
	s_add_nc_u64 s[8:9], s[2:3], s[8:9]
	s_wait_alu 0xfffe
	s_cmp_eq_u64 s[8:9], 0
	s_cselect_b32 s3, s3, s9
	s_cselect_b32 s2, s2, s8
	s_wait_alu 0xfffe
	v_mov_b32_e32 v10, s3
	s_and_b64 s[8:9], s[2:3], s[12:13]
	v_mov_b32_e32 v9, s2
	s_wait_alu 0xfffe
	s_mul_u64 s[8:9], s[8:9], 24
	s_wait_loadcnt 0x0
	s_wait_alu 0xfffe
	v_add_co_u32 v6, vcc_lo, v4, s8
	s_wait_alu 0xfffd
	v_add_co_ci_u32_e64 v7, null, s9, v5, vcc_lo
	global_store_b64 v[6:7], v[11:12], off
	global_wb scope:SCOPE_SYS
	s_wait_storecnt 0x0
	global_atomic_cmpswap_b64 v[4:5], v8, v[9:12], s[6:7] offset:24 th:TH_ATOMIC_RETURN scope:SCOPE_SYS
	s_wait_loadcnt 0x0
	v_cmp_ne_u64_e32 vcc_lo, v[4:5], v[11:12]
	s_and_b32 exec_lo, exec_lo, vcc_lo
	s_cbranch_execz .LBB5_241
; %bb.239:
	s_mov_b32 s8, 0
.LBB5_240:                              ; =>This Inner Loop Header: Depth=1
	v_dual_mov_b32 v2, s2 :: v_dual_mov_b32 v3, s3
	s_sleep 1
	global_store_b64 v[6:7], v[4:5], off
	global_wb scope:SCOPE_SYS
	s_wait_storecnt 0x0
	global_atomic_cmpswap_b64 v[2:3], v8, v[2:5], s[6:7] offset:24 th:TH_ATOMIC_RETURN scope:SCOPE_SYS
	s_wait_loadcnt 0x0
	v_cmp_eq_u64_e32 vcc_lo, v[2:3], v[4:5]
	v_dual_mov_b32 v5, v3 :: v_dual_mov_b32 v4, v2
	s_wait_alu 0xfffe
	s_or_b32 s8, vcc_lo, s8
	s_wait_alu 0xfffe
	s_and_not1_b32 exec_lo, exec_lo, s8
	s_cbranch_execnz .LBB5_240
.LBB5_241:
	s_wait_alu 0xfffe
	s_or_b32 exec_lo, exec_lo, s10
	s_getpc_b64 s[8:9]
	s_wait_alu 0xfffe
	s_sext_i32_i16 s9, s9
	s_add_co_u32 s8, s8, .str.1@rel32@lo+12
	s_wait_alu 0xfffe
	s_add_co_ci_u32 s9, s9, .str.1@rel32@hi+24
	s_wait_alu 0xfffe
	s_cmp_lg_u64 s[8:9], 0
	s_cbranch_scc0 .LBB5_320
; %bb.242:
	s_wait_loadcnt 0x0
	v_dual_mov_b32 v7, 0 :: v_dual_and_b32 v34, 2, v0
	v_dual_mov_b32 v3, v1 :: v_dual_and_b32 v2, -3, v0
	v_dual_mov_b32 v8, 2 :: v_dual_mov_b32 v9, 1
	s_mov_b64 s[10:11], 48
	s_branch .LBB5_244
.LBB5_243:                              ;   in Loop: Header=BB5_244 Depth=1
	s_wait_alu 0xfffe
	s_or_b32 exec_lo, exec_lo, s16
	s_sub_nc_u64 s[10:11], s[10:11], s[12:13]
	s_add_nc_u64 s[8:9], s[8:9], s[12:13]
	s_wait_alu 0xfffe
	s_cmp_lg_u64 s[10:11], 0
	s_cbranch_scc0 .LBB5_319
.LBB5_244:                              ; =>This Loop Header: Depth=1
                                        ;     Child Loop BB5_247 Depth 2
                                        ;     Child Loop BB5_254 Depth 2
                                        ;     Child Loop BB5_261 Depth 2
                                        ;     Child Loop BB5_268 Depth 2
                                        ;     Child Loop BB5_275 Depth 2
                                        ;     Child Loop BB5_282 Depth 2
                                        ;     Child Loop BB5_289 Depth 2
                                        ;     Child Loop BB5_296 Depth 2
                                        ;     Child Loop BB5_304 Depth 2
                                        ;     Child Loop BB5_313 Depth 2
                                        ;     Child Loop BB5_318 Depth 2
	s_wait_alu 0xfffe
	v_cmp_lt_u64_e64 s2, s[10:11], 56
	v_cmp_gt_u64_e64 s3, s[10:11], 7
	s_and_b32 s2, s2, exec_lo
	s_cselect_b32 s13, s11, 0
	s_cselect_b32 s12, s10, 56
	s_and_b32 vcc_lo, exec_lo, s3
	s_wait_alu 0xfffe
	s_cbranch_vccnz .LBB5_249
; %bb.245:                              ;   in Loop: Header=BB5_244 Depth=1
	v_mov_b32_e32 v4, 0
	v_mov_b32_e32 v5, 0
	s_cmp_eq_u64 s[10:11], 0
	s_cbranch_scc1 .LBB5_248
; %bb.246:                              ;   in Loop: Header=BB5_244 Depth=1
	s_mov_b64 s[2:3], 0
	s_mov_b64 s[14:15], 0
.LBB5_247:                              ;   Parent Loop BB5_244 Depth=1
                                        ; =>  This Inner Loop Header: Depth=2
	s_wait_alu 0xfffe
	s_add_nc_u64 s[16:17], s[8:9], s[14:15]
	s_add_nc_u64 s[14:15], s[14:15], 1
	global_load_u8 v6, v7, s[16:17]
	s_wait_alu 0xfffe
	s_cmp_lg_u32 s12, s14
	s_wait_loadcnt 0x0
	v_and_b32_e32 v6, 0xffff, v6
	s_delay_alu instid0(VALU_DEP_1) | instskip(SKIP_1) | instid1(VALU_DEP_1)
	v_lshlrev_b64_e32 v[10:11], s2, v[6:7]
	s_add_nc_u64 s[2:3], s[2:3], 8
	v_or_b32_e32 v4, v10, v4
	s_delay_alu instid0(VALU_DEP_2)
	v_or_b32_e32 v5, v11, v5
	s_cbranch_scc1 .LBB5_247
.LBB5_248:                              ;   in Loop: Header=BB5_244 Depth=1
	s_mov_b64 s[14:15], s[8:9]
	s_mov_b32 s18, 0
	s_cbranch_execz .LBB5_250
	s_branch .LBB5_251
.LBB5_249:                              ;   in Loop: Header=BB5_244 Depth=1
	s_add_nc_u64 s[14:15], s[8:9], 8
	s_mov_b32 s18, 0
.LBB5_250:                              ;   in Loop: Header=BB5_244 Depth=1
	global_load_b64 v[4:5], v7, s[8:9]
	s_add_co_i32 s18, s12, -8
.LBB5_251:                              ;   in Loop: Header=BB5_244 Depth=1
	s_wait_alu 0xfffe
	s_cmp_gt_u32 s18, 7
	s_cbranch_scc1 .LBB5_256
; %bb.252:                              ;   in Loop: Header=BB5_244 Depth=1
	v_mov_b32_e32 v10, 0
	v_mov_b32_e32 v11, 0
	s_cmp_eq_u32 s18, 0
	s_cbranch_scc1 .LBB5_255
; %bb.253:                              ;   in Loop: Header=BB5_244 Depth=1
	s_mov_b64 s[2:3], 0
	s_mov_b64 s[16:17], 0
.LBB5_254:                              ;   Parent Loop BB5_244 Depth=1
                                        ; =>  This Inner Loop Header: Depth=2
	s_wait_alu 0xfffe
	s_add_nc_u64 s[24:25], s[14:15], s[16:17]
	s_add_nc_u64 s[16:17], s[16:17], 1
	global_load_u8 v6, v7, s[24:25]
	s_wait_alu 0xfffe
	s_cmp_lg_u32 s18, s16
	s_wait_loadcnt 0x0
	v_and_b32_e32 v6, 0xffff, v6
	s_delay_alu instid0(VALU_DEP_1) | instskip(SKIP_1) | instid1(VALU_DEP_1)
	v_lshlrev_b64_e32 v[12:13], s2, v[6:7]
	s_add_nc_u64 s[2:3], s[2:3], 8
	v_or_b32_e32 v10, v12, v10
	s_delay_alu instid0(VALU_DEP_2)
	v_or_b32_e32 v11, v13, v11
	s_cbranch_scc1 .LBB5_254
.LBB5_255:                              ;   in Loop: Header=BB5_244 Depth=1
	s_mov_b64 s[2:3], s[14:15]
	s_mov_b32 s19, 0
	s_cbranch_execz .LBB5_257
	s_branch .LBB5_258
.LBB5_256:                              ;   in Loop: Header=BB5_244 Depth=1
	s_add_nc_u64 s[2:3], s[14:15], 8
                                        ; implicit-def: $vgpr10_vgpr11
	s_mov_b32 s19, 0
.LBB5_257:                              ;   in Loop: Header=BB5_244 Depth=1
	global_load_b64 v[10:11], v7, s[14:15]
	s_add_co_i32 s19, s18, -8
.LBB5_258:                              ;   in Loop: Header=BB5_244 Depth=1
	s_wait_alu 0xfffe
	s_cmp_gt_u32 s19, 7
	s_cbranch_scc1 .LBB5_263
; %bb.259:                              ;   in Loop: Header=BB5_244 Depth=1
	v_mov_b32_e32 v12, 0
	v_mov_b32_e32 v13, 0
	s_cmp_eq_u32 s19, 0
	s_cbranch_scc1 .LBB5_262
; %bb.260:                              ;   in Loop: Header=BB5_244 Depth=1
	s_mov_b64 s[14:15], 0
	s_mov_b64 s[16:17], 0
.LBB5_261:                              ;   Parent Loop BB5_244 Depth=1
                                        ; =>  This Inner Loop Header: Depth=2
	s_wait_alu 0xfffe
	s_add_nc_u64 s[24:25], s[2:3], s[16:17]
	s_add_nc_u64 s[16:17], s[16:17], 1
	global_load_u8 v6, v7, s[24:25]
	s_wait_alu 0xfffe
	s_cmp_lg_u32 s19, s16
	s_wait_loadcnt 0x0
	v_and_b32_e32 v6, 0xffff, v6
	s_delay_alu instid0(VALU_DEP_1) | instskip(SKIP_1) | instid1(VALU_DEP_1)
	v_lshlrev_b64_e32 v[14:15], s14, v[6:7]
	s_add_nc_u64 s[14:15], s[14:15], 8
	v_or_b32_e32 v12, v14, v12
	s_delay_alu instid0(VALU_DEP_2)
	v_or_b32_e32 v13, v15, v13
	s_cbranch_scc1 .LBB5_261
.LBB5_262:                              ;   in Loop: Header=BB5_244 Depth=1
	s_mov_b64 s[14:15], s[2:3]
	s_mov_b32 s18, 0
	s_cbranch_execz .LBB5_264
	s_branch .LBB5_265
.LBB5_263:                              ;   in Loop: Header=BB5_244 Depth=1
	s_add_nc_u64 s[14:15], s[2:3], 8
	s_mov_b32 s18, 0
.LBB5_264:                              ;   in Loop: Header=BB5_244 Depth=1
	global_load_b64 v[12:13], v7, s[2:3]
	s_add_co_i32 s18, s19, -8
.LBB5_265:                              ;   in Loop: Header=BB5_244 Depth=1
	s_wait_alu 0xfffe
	s_cmp_gt_u32 s18, 7
	s_cbranch_scc1 .LBB5_270
; %bb.266:                              ;   in Loop: Header=BB5_244 Depth=1
	v_mov_b32_e32 v14, 0
	v_mov_b32_e32 v15, 0
	s_cmp_eq_u32 s18, 0
	s_cbranch_scc1 .LBB5_269
; %bb.267:                              ;   in Loop: Header=BB5_244 Depth=1
	s_mov_b64 s[2:3], 0
	s_mov_b64 s[16:17], 0
.LBB5_268:                              ;   Parent Loop BB5_244 Depth=1
                                        ; =>  This Inner Loop Header: Depth=2
	s_wait_alu 0xfffe
	s_add_nc_u64 s[24:25], s[14:15], s[16:17]
	s_add_nc_u64 s[16:17], s[16:17], 1
	global_load_u8 v6, v7, s[24:25]
	s_wait_alu 0xfffe
	s_cmp_lg_u32 s18, s16
	s_wait_loadcnt 0x0
	v_and_b32_e32 v6, 0xffff, v6
	s_delay_alu instid0(VALU_DEP_1) | instskip(SKIP_1) | instid1(VALU_DEP_1)
	v_lshlrev_b64_e32 v[16:17], s2, v[6:7]
	s_add_nc_u64 s[2:3], s[2:3], 8
	v_or_b32_e32 v14, v16, v14
	s_delay_alu instid0(VALU_DEP_2)
	v_or_b32_e32 v15, v17, v15
	s_cbranch_scc1 .LBB5_268
.LBB5_269:                              ;   in Loop: Header=BB5_244 Depth=1
	s_mov_b64 s[2:3], s[14:15]
	s_mov_b32 s19, 0
	s_cbranch_execz .LBB5_271
	s_branch .LBB5_272
.LBB5_270:                              ;   in Loop: Header=BB5_244 Depth=1
	s_add_nc_u64 s[2:3], s[14:15], 8
                                        ; implicit-def: $vgpr14_vgpr15
	s_mov_b32 s19, 0
.LBB5_271:                              ;   in Loop: Header=BB5_244 Depth=1
	global_load_b64 v[14:15], v7, s[14:15]
	s_add_co_i32 s19, s18, -8
.LBB5_272:                              ;   in Loop: Header=BB5_244 Depth=1
	s_wait_alu 0xfffe
	s_cmp_gt_u32 s19, 7
	s_cbranch_scc1 .LBB5_277
; %bb.273:                              ;   in Loop: Header=BB5_244 Depth=1
	v_mov_b32_e32 v16, 0
	v_mov_b32_e32 v17, 0
	s_cmp_eq_u32 s19, 0
	s_cbranch_scc1 .LBB5_276
; %bb.274:                              ;   in Loop: Header=BB5_244 Depth=1
	s_mov_b64 s[14:15], 0
	s_mov_b64 s[16:17], 0
.LBB5_275:                              ;   Parent Loop BB5_244 Depth=1
                                        ; =>  This Inner Loop Header: Depth=2
	s_wait_alu 0xfffe
	s_add_nc_u64 s[24:25], s[2:3], s[16:17]
	s_add_nc_u64 s[16:17], s[16:17], 1
	global_load_u8 v6, v7, s[24:25]
	s_wait_alu 0xfffe
	s_cmp_lg_u32 s19, s16
	s_wait_loadcnt 0x0
	v_and_b32_e32 v6, 0xffff, v6
	s_delay_alu instid0(VALU_DEP_1) | instskip(SKIP_1) | instid1(VALU_DEP_1)
	v_lshlrev_b64_e32 v[18:19], s14, v[6:7]
	s_add_nc_u64 s[14:15], s[14:15], 8
	v_or_b32_e32 v16, v18, v16
	s_delay_alu instid0(VALU_DEP_2)
	v_or_b32_e32 v17, v19, v17
	s_cbranch_scc1 .LBB5_275
.LBB5_276:                              ;   in Loop: Header=BB5_244 Depth=1
	s_mov_b64 s[14:15], s[2:3]
	s_mov_b32 s18, 0
	s_cbranch_execz .LBB5_278
	s_branch .LBB5_279
.LBB5_277:                              ;   in Loop: Header=BB5_244 Depth=1
	s_add_nc_u64 s[14:15], s[2:3], 8
	s_mov_b32 s18, 0
.LBB5_278:                              ;   in Loop: Header=BB5_244 Depth=1
	global_load_b64 v[16:17], v7, s[2:3]
	s_add_co_i32 s18, s19, -8
.LBB5_279:                              ;   in Loop: Header=BB5_244 Depth=1
	s_wait_alu 0xfffe
	s_cmp_gt_u32 s18, 7
	s_cbranch_scc1 .LBB5_284
; %bb.280:                              ;   in Loop: Header=BB5_244 Depth=1
	v_mov_b32_e32 v18, 0
	v_mov_b32_e32 v19, 0
	s_cmp_eq_u32 s18, 0
	s_cbranch_scc1 .LBB5_283
; %bb.281:                              ;   in Loop: Header=BB5_244 Depth=1
	s_mov_b64 s[2:3], 0
	s_mov_b64 s[16:17], 0
.LBB5_282:                              ;   Parent Loop BB5_244 Depth=1
                                        ; =>  This Inner Loop Header: Depth=2
	s_wait_alu 0xfffe
	s_add_nc_u64 s[24:25], s[14:15], s[16:17]
	s_add_nc_u64 s[16:17], s[16:17], 1
	global_load_u8 v6, v7, s[24:25]
	s_wait_alu 0xfffe
	s_cmp_lg_u32 s18, s16
	s_wait_loadcnt 0x0
	v_and_b32_e32 v6, 0xffff, v6
	s_delay_alu instid0(VALU_DEP_1) | instskip(SKIP_1) | instid1(VALU_DEP_1)
	v_lshlrev_b64_e32 v[20:21], s2, v[6:7]
	s_add_nc_u64 s[2:3], s[2:3], 8
	v_or_b32_e32 v18, v20, v18
	s_delay_alu instid0(VALU_DEP_2)
	v_or_b32_e32 v19, v21, v19
	s_cbranch_scc1 .LBB5_282
.LBB5_283:                              ;   in Loop: Header=BB5_244 Depth=1
	s_mov_b64 s[2:3], s[14:15]
	s_mov_b32 s19, 0
	s_cbranch_execz .LBB5_285
	s_branch .LBB5_286
.LBB5_284:                              ;   in Loop: Header=BB5_244 Depth=1
	s_add_nc_u64 s[2:3], s[14:15], 8
                                        ; implicit-def: $vgpr18_vgpr19
	s_mov_b32 s19, 0
.LBB5_285:                              ;   in Loop: Header=BB5_244 Depth=1
	global_load_b64 v[18:19], v7, s[14:15]
	s_add_co_i32 s19, s18, -8
.LBB5_286:                              ;   in Loop: Header=BB5_244 Depth=1
	s_wait_alu 0xfffe
	s_cmp_gt_u32 s19, 7
	s_cbranch_scc1 .LBB5_291
; %bb.287:                              ;   in Loop: Header=BB5_244 Depth=1
	v_mov_b32_e32 v20, 0
	v_mov_b32_e32 v21, 0
	s_cmp_eq_u32 s19, 0
	s_cbranch_scc1 .LBB5_290
; %bb.288:                              ;   in Loop: Header=BB5_244 Depth=1
	s_mov_b64 s[14:15], 0
	s_mov_b64 s[16:17], s[2:3]
.LBB5_289:                              ;   Parent Loop BB5_244 Depth=1
                                        ; =>  This Inner Loop Header: Depth=2
	global_load_u8 v6, v7, s[16:17]
	s_add_co_i32 s19, s19, -1
	s_wait_alu 0xfffe
	s_add_nc_u64 s[16:17], s[16:17], 1
	s_cmp_lg_u32 s19, 0
	s_wait_loadcnt 0x0
	v_and_b32_e32 v6, 0xffff, v6
	s_delay_alu instid0(VALU_DEP_1) | instskip(SKIP_1) | instid1(VALU_DEP_1)
	v_lshlrev_b64_e32 v[22:23], s14, v[6:7]
	s_add_nc_u64 s[14:15], s[14:15], 8
	v_or_b32_e32 v20, v22, v20
	s_delay_alu instid0(VALU_DEP_2)
	v_or_b32_e32 v21, v23, v21
	s_cbranch_scc1 .LBB5_289
.LBB5_290:                              ;   in Loop: Header=BB5_244 Depth=1
	s_cbranch_execz .LBB5_292
	s_branch .LBB5_293
.LBB5_291:                              ;   in Loop: Header=BB5_244 Depth=1
.LBB5_292:                              ;   in Loop: Header=BB5_244 Depth=1
	global_load_b64 v[20:21], v7, s[2:3]
.LBB5_293:                              ;   in Loop: Header=BB5_244 Depth=1
	v_readfirstlane_b32 s2, v33
	v_mov_b32_e32 v27, 0
	v_mov_b32_e32 v28, 0
	s_wait_alu 0xf1ff
	s_delay_alu instid0(VALU_DEP_3)
	v_cmp_eq_u32_e64 s2, s2, v33
	s_and_saveexec_b32 s3, s2
	s_cbranch_execz .LBB5_299
; %bb.294:                              ;   in Loop: Header=BB5_244 Depth=1
	global_load_b64 v[24:25], v7, s[6:7] offset:24 scope:SCOPE_SYS
	s_wait_loadcnt 0x0
	global_inv scope:SCOPE_SYS
	s_clause 0x1
	global_load_b64 v[22:23], v7, s[6:7] offset:40
	global_load_b64 v[27:28], v7, s[6:7]
	s_mov_b32 s14, exec_lo
	s_wait_loadcnt 0x1
	v_and_b32_e32 v6, v23, v25
	v_and_b32_e32 v22, v22, v24
	s_delay_alu instid0(VALU_DEP_2) | instskip(NEXT) | instid1(VALU_DEP_2)
	v_mul_lo_u32 v6, 24, v6
	v_mul_lo_u32 v23, 0, v22
	v_mul_hi_u32 v29, 24, v22
	v_mul_lo_u32 v22, 24, v22
	s_delay_alu instid0(VALU_DEP_3) | instskip(SKIP_1) | instid1(VALU_DEP_2)
	v_add_nc_u32_e32 v6, v6, v23
	s_wait_loadcnt 0x0
	v_add_co_u32 v22, vcc_lo, v27, v22
	s_delay_alu instid0(VALU_DEP_2) | instskip(SKIP_1) | instid1(VALU_DEP_1)
	v_add_nc_u32_e32 v6, v6, v29
	s_wait_alu 0xfffd
	v_add_co_ci_u32_e64 v23, null, v28, v6, vcc_lo
	global_load_b64 v[22:23], v[22:23], off scope:SCOPE_SYS
	s_wait_loadcnt 0x0
	global_atomic_cmpswap_b64 v[27:28], v7, v[22:25], s[6:7] offset:24 th:TH_ATOMIC_RETURN scope:SCOPE_SYS
	s_wait_loadcnt 0x0
	global_inv scope:SCOPE_SYS
	v_cmpx_ne_u64_e64 v[27:28], v[24:25]
	s_cbranch_execz .LBB5_298
; %bb.295:                              ;   in Loop: Header=BB5_244 Depth=1
	s_mov_b32 s15, 0
.LBB5_296:                              ;   Parent Loop BB5_244 Depth=1
                                        ; =>  This Inner Loop Header: Depth=2
	s_sleep 1
	s_clause 0x1
	global_load_b64 v[22:23], v7, s[6:7] offset:40
	global_load_b64 v[29:30], v7, s[6:7]
	v_dual_mov_b32 v24, v27 :: v_dual_mov_b32 v25, v28
	s_wait_loadcnt 0x1
	s_delay_alu instid0(VALU_DEP_1) | instskip(NEXT) | instid1(VALU_DEP_2)
	v_and_b32_e32 v6, v22, v24
	v_and_b32_e32 v22, v23, v25
	s_wait_loadcnt 0x0
	s_delay_alu instid0(VALU_DEP_2) | instskip(NEXT) | instid1(VALU_DEP_1)
	v_mad_co_u64_u32 v[27:28], null, v6, 24, v[29:30]
	v_mov_b32_e32 v6, v28
	s_delay_alu instid0(VALU_DEP_1) | instskip(NEXT) | instid1(VALU_DEP_1)
	v_mad_co_u64_u32 v[22:23], null, v22, 24, v[6:7]
	v_mov_b32_e32 v28, v22
	global_load_b64 v[22:23], v[27:28], off scope:SCOPE_SYS
	s_wait_loadcnt 0x0
	global_atomic_cmpswap_b64 v[27:28], v7, v[22:25], s[6:7] offset:24 th:TH_ATOMIC_RETURN scope:SCOPE_SYS
	s_wait_loadcnt 0x0
	global_inv scope:SCOPE_SYS
	v_cmp_eq_u64_e32 vcc_lo, v[27:28], v[24:25]
	s_wait_alu 0xfffe
	s_or_b32 s15, vcc_lo, s15
	s_wait_alu 0xfffe
	s_and_not1_b32 exec_lo, exec_lo, s15
	s_cbranch_execnz .LBB5_296
; %bb.297:                              ;   in Loop: Header=BB5_244 Depth=1
	s_or_b32 exec_lo, exec_lo, s15
.LBB5_298:                              ;   in Loop: Header=BB5_244 Depth=1
	s_wait_alu 0xfffe
	s_or_b32 exec_lo, exec_lo, s14
.LBB5_299:                              ;   in Loop: Header=BB5_244 Depth=1
	s_wait_alu 0xfffe
	s_or_b32 exec_lo, exec_lo, s3
	s_clause 0x1
	global_load_b64 v[29:30], v7, s[6:7] offset:40
	global_load_b128 v[22:25], v7, s[6:7]
	v_readfirstlane_b32 s15, v28
	v_readfirstlane_b32 s14, v27
	s_mov_b32 s3, exec_lo
	s_wait_loadcnt 0x1
	s_wait_alu 0xf1ff
	v_and_b32_e32 v30, s15, v30
	v_and_b32_e32 v29, s14, v29
	s_delay_alu instid0(VALU_DEP_2) | instskip(NEXT) | instid1(VALU_DEP_2)
	v_mul_lo_u32 v6, 24, v30
	v_mul_lo_u32 v27, 0, v29
	v_mul_hi_u32 v28, 24, v29
	v_mul_lo_u32 v35, 24, v29
	s_delay_alu instid0(VALU_DEP_3) | instskip(SKIP_1) | instid1(VALU_DEP_2)
	v_add_nc_u32_e32 v6, v6, v27
	s_wait_loadcnt 0x0
	v_add_co_u32 v27, vcc_lo, v22, v35
	s_delay_alu instid0(VALU_DEP_2) | instskip(SKIP_1) | instid1(VALU_DEP_1)
	v_add_nc_u32_e32 v6, v6, v28
	s_wait_alu 0xfffd
	v_add_co_ci_u32_e64 v28, null, v23, v6, vcc_lo
	s_and_saveexec_b32 s16, s2
	s_cbranch_execz .LBB5_301
; %bb.300:                              ;   in Loop: Header=BB5_244 Depth=1
	s_wait_alu 0xfffe
	v_mov_b32_e32 v6, s3
	global_store_b128 v[27:28], v[6:9], off offset:8
.LBB5_301:                              ;   in Loop: Header=BB5_244 Depth=1
	s_wait_alu 0xfffe
	s_or_b32 exec_lo, exec_lo, s16
	v_cmp_lt_u64_e64 vcc_lo, s[10:11], 57
	v_lshlrev_b64_e32 v[29:30], 12, v[29:30]
	v_and_b32_e32 v2, 0xffffff1f, v2
	s_lshl_b32 s3, s12, 2
	s_wait_alu 0xfffe
	s_add_co_i32 s3, s3, 28
	s_wait_alu 0xfffd
	v_cndmask_b32_e32 v6, 0, v34, vcc_lo
	v_add_co_u32 v24, vcc_lo, v24, v29
	s_wait_alu 0xfffd
	v_add_co_ci_u32_e64 v25, null, v25, v30, vcc_lo
	s_delay_alu instid0(VALU_DEP_3) | instskip(NEXT) | instid1(VALU_DEP_3)
	v_or_b32_e32 v2, v2, v6
	v_readfirstlane_b32 s16, v24
	s_delay_alu instid0(VALU_DEP_3) | instskip(SKIP_1) | instid1(VALU_DEP_3)
	v_readfirstlane_b32 s17, v25
	s_wait_alu 0xfffe
	v_and_or_b32 v2, 0x1e0, s3, v2
	s_clause 0x3
	global_store_b128 v32, v[2:5], s[16:17]
	global_store_b128 v32, v[10:13], s[16:17] offset:16
	global_store_b128 v32, v[14:17], s[16:17] offset:32
	;; [unrolled: 1-line block ×3, first 2 shown]
	s_and_saveexec_b32 s3, s2
	s_cbranch_execz .LBB5_309
; %bb.302:                              ;   in Loop: Header=BB5_244 Depth=1
	s_clause 0x1
	global_load_b64 v[14:15], v7, s[6:7] offset:32 scope:SCOPE_SYS
	global_load_b64 v[2:3], v7, s[6:7] offset:40
	s_mov_b32 s16, exec_lo
	v_dual_mov_b32 v12, s14 :: v_dual_mov_b32 v13, s15
	s_wait_loadcnt 0x0
	v_and_b32_e32 v2, s14, v2
	v_and_b32_e32 v3, s15, v3
	s_delay_alu instid0(VALU_DEP_2) | instskip(NEXT) | instid1(VALU_DEP_2)
	v_mul_lo_u32 v4, 0, v2
	v_mul_lo_u32 v3, 24, v3
	v_mul_hi_u32 v5, 24, v2
	v_mul_lo_u32 v2, 24, v2
	s_delay_alu instid0(VALU_DEP_3) | instskip(NEXT) | instid1(VALU_DEP_2)
	v_add_nc_u32_e32 v3, v3, v4
	v_add_co_u32 v10, vcc_lo, v22, v2
	s_delay_alu instid0(VALU_DEP_2) | instskip(SKIP_1) | instid1(VALU_DEP_1)
	v_add_nc_u32_e32 v3, v3, v5
	s_wait_alu 0xfffd
	v_add_co_ci_u32_e64 v11, null, v23, v3, vcc_lo
	global_store_b64 v[10:11], v[14:15], off
	global_wb scope:SCOPE_SYS
	s_wait_storecnt 0x0
	global_atomic_cmpswap_b64 v[4:5], v7, v[12:15], s[6:7] offset:32 th:TH_ATOMIC_RETURN scope:SCOPE_SYS
	s_wait_loadcnt 0x0
	v_cmpx_ne_u64_e64 v[4:5], v[14:15]
	s_cbranch_execz .LBB5_305
; %bb.303:                              ;   in Loop: Header=BB5_244 Depth=1
	s_mov_b32 s17, 0
.LBB5_304:                              ;   Parent Loop BB5_244 Depth=1
                                        ; =>  This Inner Loop Header: Depth=2
	v_dual_mov_b32 v2, s14 :: v_dual_mov_b32 v3, s15
	s_sleep 1
	global_store_b64 v[10:11], v[4:5], off
	global_wb scope:SCOPE_SYS
	s_wait_storecnt 0x0
	global_atomic_cmpswap_b64 v[2:3], v7, v[2:5], s[6:7] offset:32 th:TH_ATOMIC_RETURN scope:SCOPE_SYS
	s_wait_loadcnt 0x0
	v_cmp_eq_u64_e32 vcc_lo, v[2:3], v[4:5]
	v_dual_mov_b32 v5, v3 :: v_dual_mov_b32 v4, v2
	s_wait_alu 0xfffe
	s_or_b32 s17, vcc_lo, s17
	s_wait_alu 0xfffe
	s_and_not1_b32 exec_lo, exec_lo, s17
	s_cbranch_execnz .LBB5_304
.LBB5_305:                              ;   in Loop: Header=BB5_244 Depth=1
	s_wait_alu 0xfffe
	s_or_b32 exec_lo, exec_lo, s16
	global_load_b64 v[2:3], v7, s[6:7] offset:16
	s_mov_b32 s17, exec_lo
	s_mov_b32 s16, exec_lo
	s_wait_alu 0xfffe
	v_mbcnt_lo_u32_b32 v4, s17, 0
	s_delay_alu instid0(VALU_DEP_1)
	v_cmpx_eq_u32_e32 0, v4
	s_cbranch_execz .LBB5_307
; %bb.306:                              ;   in Loop: Header=BB5_244 Depth=1
	s_bcnt1_i32_b32 s17, s17
	s_wait_alu 0xfffe
	v_mov_b32_e32 v6, s17
	global_wb scope:SCOPE_SYS
	s_wait_loadcnt 0x0
	s_wait_storecnt 0x0
	global_atomic_add_u64 v[2:3], v[6:7], off offset:8 scope:SCOPE_SYS
.LBB5_307:                              ;   in Loop: Header=BB5_244 Depth=1
	s_or_b32 exec_lo, exec_lo, s16
	s_wait_loadcnt 0x0
	global_load_b64 v[4:5], v[2:3], off offset:16
	s_wait_loadcnt 0x0
	v_cmp_eq_u64_e32 vcc_lo, 0, v[4:5]
	s_cbranch_vccnz .LBB5_309
; %bb.308:                              ;   in Loop: Header=BB5_244 Depth=1
	global_load_b32 v6, v[2:3], off offset:24
	s_wait_loadcnt 0x0
	v_readfirstlane_b32 s16, v6
	global_wb scope:SCOPE_SYS
	s_wait_storecnt 0x0
	global_store_b64 v[4:5], v[6:7], off scope:SCOPE_SYS
	s_and_b32 m0, s16, 0xffffff
	s_sendmsg sendmsg(MSG_INTERRUPT)
.LBB5_309:                              ;   in Loop: Header=BB5_244 Depth=1
	s_wait_alu 0xfffe
	s_or_b32 exec_lo, exec_lo, s3
	v_add_co_u32 v2, vcc_lo, v24, v32
	s_wait_alu 0xfffd
	v_add_co_ci_u32_e64 v3, null, 0, v25, vcc_lo
	s_branch .LBB5_313
.LBB5_310:                              ;   in Loop: Header=BB5_313 Depth=2
	s_wait_alu 0xfffe
	s_or_b32 exec_lo, exec_lo, s3
	s_delay_alu instid0(VALU_DEP_1)
	v_readfirstlane_b32 s3, v4
	s_cmp_eq_u32 s3, 0
	s_cbranch_scc1 .LBB5_312
; %bb.311:                              ;   in Loop: Header=BB5_313 Depth=2
	s_sleep 1
	s_cbranch_execnz .LBB5_313
	s_branch .LBB5_315
.LBB5_312:                              ;   in Loop: Header=BB5_244 Depth=1
	s_branch .LBB5_315
.LBB5_313:                              ;   Parent Loop BB5_244 Depth=1
                                        ; =>  This Inner Loop Header: Depth=2
	v_mov_b32_e32 v4, 1
	s_and_saveexec_b32 s3, s2
	s_cbranch_execz .LBB5_310
; %bb.314:                              ;   in Loop: Header=BB5_313 Depth=2
	global_load_b32 v4, v[27:28], off offset:20 scope:SCOPE_SYS
	s_wait_loadcnt 0x0
	global_inv scope:SCOPE_SYS
	v_and_b32_e32 v4, 1, v4
	s_branch .LBB5_310
.LBB5_315:                              ;   in Loop: Header=BB5_244 Depth=1
	global_load_b64 v[2:3], v[2:3], off
	s_and_saveexec_b32 s16, s2
	s_cbranch_execz .LBB5_243
; %bb.316:                              ;   in Loop: Header=BB5_244 Depth=1
	s_clause 0x2
	global_load_b64 v[4:5], v7, s[6:7] offset:40
	global_load_b64 v[14:15], v7, s[6:7] offset:24 scope:SCOPE_SYS
	global_load_b64 v[10:11], v7, s[6:7]
	s_wait_loadcnt 0x2
	v_readfirstlane_b32 s18, v4
	v_readfirstlane_b32 s19, v5
	s_add_nc_u64 s[2:3], s[18:19], 1
	s_wait_alu 0xfffe
	s_add_nc_u64 s[14:15], s[2:3], s[14:15]
	s_wait_alu 0xfffe
	s_cmp_eq_u64 s[14:15], 0
	s_cselect_b32 s3, s3, s15
	s_cselect_b32 s2, s2, s14
	s_wait_alu 0xfffe
	v_dual_mov_b32 v13, s3 :: v_dual_mov_b32 v12, s2
	s_and_b64 s[14:15], s[2:3], s[18:19]
	s_wait_alu 0xfffe
	s_mul_u64 s[14:15], s[14:15], 24
	s_wait_loadcnt 0x0
	s_wait_alu 0xfffe
	v_add_co_u32 v4, vcc_lo, v10, s14
	s_wait_alu 0xfffd
	v_add_co_ci_u32_e64 v5, null, s15, v11, vcc_lo
	global_store_b64 v[4:5], v[14:15], off
	global_wb scope:SCOPE_SYS
	s_wait_storecnt 0x0
	global_atomic_cmpswap_b64 v[12:13], v7, v[12:15], s[6:7] offset:24 th:TH_ATOMIC_RETURN scope:SCOPE_SYS
	s_wait_loadcnt 0x0
	v_cmp_ne_u64_e32 vcc_lo, v[12:13], v[14:15]
	s_and_b32 exec_lo, exec_lo, vcc_lo
	s_cbranch_execz .LBB5_243
; %bb.317:                              ;   in Loop: Header=BB5_244 Depth=1
	s_mov_b32 s14, 0
.LBB5_318:                              ;   Parent Loop BB5_244 Depth=1
                                        ; =>  This Inner Loop Header: Depth=2
	v_dual_mov_b32 v10, s2 :: v_dual_mov_b32 v11, s3
	s_sleep 1
	global_store_b64 v[4:5], v[12:13], off
	global_wb scope:SCOPE_SYS
	s_wait_storecnt 0x0
	global_atomic_cmpswap_b64 v[10:11], v7, v[10:13], s[6:7] offset:24 th:TH_ATOMIC_RETURN scope:SCOPE_SYS
	s_wait_loadcnt 0x0
	v_cmp_eq_u64_e32 vcc_lo, v[10:11], v[12:13]
	v_dual_mov_b32 v13, v11 :: v_dual_mov_b32 v12, v10
	s_wait_alu 0xfffe
	s_or_b32 s14, vcc_lo, s14
	s_wait_alu 0xfffe
	s_and_not1_b32 exec_lo, exec_lo, s14
	s_cbranch_execnz .LBB5_318
	s_branch .LBB5_243
.LBB5_319:
	s_branch .LBB5_348
.LBB5_320:
                                        ; implicit-def: $vgpr2_vgpr3
	s_cbranch_execz .LBB5_348
; %bb.321:
	v_readfirstlane_b32 s2, v33
	v_mov_b32_e32 v8, 0
	v_mov_b32_e32 v9, 0
	s_wait_alu 0xf1ff
	s_delay_alu instid0(VALU_DEP_3)
	v_cmp_eq_u32_e64 s2, s2, v33
	s_and_saveexec_b32 s3, s2
	s_cbranch_execz .LBB5_327
; %bb.322:
	s_wait_loadcnt 0x0
	v_mov_b32_e32 v2, 0
	s_mov_b32 s8, exec_lo
	global_load_b64 v[5:6], v2, s[6:7] offset:24 scope:SCOPE_SYS
	s_wait_loadcnt 0x0
	global_inv scope:SCOPE_SYS
	s_clause 0x1
	global_load_b64 v[3:4], v2, s[6:7] offset:40
	global_load_b64 v[7:8], v2, s[6:7]
	s_wait_loadcnt 0x1
	v_and_b32_e32 v4, v4, v6
	v_and_b32_e32 v3, v3, v5
	s_delay_alu instid0(VALU_DEP_2) | instskip(NEXT) | instid1(VALU_DEP_2)
	v_mul_lo_u32 v4, 24, v4
	v_mul_lo_u32 v9, 0, v3
	v_mul_hi_u32 v10, 24, v3
	v_mul_lo_u32 v3, 24, v3
	s_delay_alu instid0(VALU_DEP_3) | instskip(SKIP_1) | instid1(VALU_DEP_2)
	v_add_nc_u32_e32 v4, v4, v9
	s_wait_loadcnt 0x0
	v_add_co_u32 v3, vcc_lo, v7, v3
	s_delay_alu instid0(VALU_DEP_2) | instskip(SKIP_1) | instid1(VALU_DEP_1)
	v_add_nc_u32_e32 v4, v4, v10
	s_wait_alu 0xfffd
	v_add_co_ci_u32_e64 v4, null, v8, v4, vcc_lo
	global_load_b64 v[3:4], v[3:4], off scope:SCOPE_SYS
	s_wait_loadcnt 0x0
	global_atomic_cmpswap_b64 v[8:9], v2, v[3:6], s[6:7] offset:24 th:TH_ATOMIC_RETURN scope:SCOPE_SYS
	s_wait_loadcnt 0x0
	global_inv scope:SCOPE_SYS
	v_cmpx_ne_u64_e64 v[8:9], v[5:6]
	s_cbranch_execz .LBB5_326
; %bb.323:
	s_mov_b32 s9, 0
.LBB5_324:                              ; =>This Inner Loop Header: Depth=1
	s_sleep 1
	s_clause 0x1
	global_load_b64 v[3:4], v2, s[6:7] offset:40
	global_load_b64 v[10:11], v2, s[6:7]
	v_dual_mov_b32 v5, v8 :: v_dual_mov_b32 v6, v9
	s_wait_loadcnt 0x1
	s_delay_alu instid0(VALU_DEP_1) | instskip(NEXT) | instid1(VALU_DEP_2)
	v_and_b32_e32 v3, v3, v5
	v_and_b32_e32 v4, v4, v6
	s_wait_loadcnt 0x0
	s_delay_alu instid0(VALU_DEP_2) | instskip(NEXT) | instid1(VALU_DEP_1)
	v_mad_co_u64_u32 v[7:8], null, v3, 24, v[10:11]
	v_mov_b32_e32 v3, v8
	s_delay_alu instid0(VALU_DEP_1) | instskip(NEXT) | instid1(VALU_DEP_1)
	v_mad_co_u64_u32 v[3:4], null, v4, 24, v[3:4]
	v_mov_b32_e32 v8, v3
	global_load_b64 v[3:4], v[7:8], off scope:SCOPE_SYS
	s_wait_loadcnt 0x0
	global_atomic_cmpswap_b64 v[8:9], v2, v[3:6], s[6:7] offset:24 th:TH_ATOMIC_RETURN scope:SCOPE_SYS
	s_wait_loadcnt 0x0
	global_inv scope:SCOPE_SYS
	v_cmp_eq_u64_e32 vcc_lo, v[8:9], v[5:6]
	s_wait_alu 0xfffe
	s_or_b32 s9, vcc_lo, s9
	s_wait_alu 0xfffe
	s_and_not1_b32 exec_lo, exec_lo, s9
	s_cbranch_execnz .LBB5_324
; %bb.325:
	s_or_b32 exec_lo, exec_lo, s9
.LBB5_326:
	s_wait_alu 0xfffe
	s_or_b32 exec_lo, exec_lo, s8
.LBB5_327:
	s_wait_alu 0xfffe
	s_or_b32 exec_lo, exec_lo, s3
	v_readfirstlane_b32 s9, v9
	s_wait_loadcnt 0x0
	v_mov_b32_e32 v2, 0
	v_readfirstlane_b32 s8, v8
	s_mov_b32 s3, exec_lo
	s_clause 0x1
	global_load_b64 v[10:11], v2, s[6:7] offset:40
	global_load_b128 v[4:7], v2, s[6:7]
	s_wait_loadcnt 0x1
	s_wait_alu 0xf1ff
	v_and_b32_e32 v11, s9, v11
	v_and_b32_e32 v10, s8, v10
	s_delay_alu instid0(VALU_DEP_2) | instskip(NEXT) | instid1(VALU_DEP_2)
	v_mul_lo_u32 v3, 24, v11
	v_mul_lo_u32 v8, 0, v10
	v_mul_hi_u32 v9, 24, v10
	v_mul_lo_u32 v12, 24, v10
	s_delay_alu instid0(VALU_DEP_3) | instskip(SKIP_1) | instid1(VALU_DEP_2)
	v_add_nc_u32_e32 v3, v3, v8
	s_wait_loadcnt 0x0
	v_add_co_u32 v8, vcc_lo, v4, v12
	s_delay_alu instid0(VALU_DEP_2) | instskip(SKIP_1) | instid1(VALU_DEP_1)
	v_add_nc_u32_e32 v3, v3, v9
	s_wait_alu 0xfffd
	v_add_co_ci_u32_e64 v9, null, v5, v3, vcc_lo
	s_and_saveexec_b32 s10, s2
	s_cbranch_execz .LBB5_329
; %bb.328:
	s_wait_alu 0xfffe
	v_dual_mov_b32 v12, s3 :: v_dual_mov_b32 v13, v2
	v_dual_mov_b32 v14, 2 :: v_dual_mov_b32 v15, 1
	global_store_b128 v[8:9], v[12:15], off offset:8
.LBB5_329:
	s_wait_alu 0xfffe
	s_or_b32 exec_lo, exec_lo, s10
	v_lshlrev_b64_e32 v[10:11], 12, v[10:11]
	s_mov_b32 s12, 0
	v_and_or_b32 v0, 0xffffff1f, v0, 32
	s_wait_alu 0xfffe
	s_mov_b32 s13, s12
	s_mov_b32 s14, s12
	;; [unrolled: 1-line block ×3, first 2 shown]
	v_add_co_u32 v6, vcc_lo, v6, v10
	s_wait_alu 0xfffd
	v_add_co_ci_u32_e64 v7, null, v7, v11, vcc_lo
	v_dual_mov_b32 v3, v2 :: v_dual_mov_b32 v10, s12
	s_delay_alu instid0(VALU_DEP_3) | instskip(SKIP_1) | instid1(VALU_DEP_4)
	v_readfirstlane_b32 s10, v6
	v_add_co_u32 v6, vcc_lo, v6, v32
	v_readfirstlane_b32 s11, v7
	s_wait_alu 0xfffd
	v_add_co_ci_u32_e64 v7, null, 0, v7, vcc_lo
	s_wait_alu 0xfffe
	v_dual_mov_b32 v11, s13 :: v_dual_mov_b32 v12, s14
	v_mov_b32_e32 v13, s15
	s_clause 0x3
	global_store_b128 v32, v[0:3], s[10:11]
	global_store_b128 v32, v[10:13], s[10:11] offset:16
	global_store_b128 v32, v[10:13], s[10:11] offset:32
	;; [unrolled: 1-line block ×3, first 2 shown]
	s_and_saveexec_b32 s3, s2
	s_cbranch_execz .LBB5_337
; %bb.330:
	v_mov_b32_e32 v10, 0
	s_mov_b32 s10, exec_lo
	s_clause 0x1
	global_load_b64 v[13:14], v10, s[6:7] offset:32 scope:SCOPE_SYS
	global_load_b64 v[0:1], v10, s[6:7] offset:40
	v_dual_mov_b32 v11, s8 :: v_dual_mov_b32 v12, s9
	s_wait_loadcnt 0x0
	v_and_b32_e32 v1, s9, v1
	v_and_b32_e32 v0, s8, v0
	s_delay_alu instid0(VALU_DEP_2) | instskip(NEXT) | instid1(VALU_DEP_2)
	v_mul_lo_u32 v1, 24, v1
	v_mul_lo_u32 v2, 0, v0
	v_mul_hi_u32 v3, 24, v0
	v_mul_lo_u32 v0, 24, v0
	s_delay_alu instid0(VALU_DEP_3) | instskip(NEXT) | instid1(VALU_DEP_2)
	v_add_nc_u32_e32 v1, v1, v2
	v_add_co_u32 v4, vcc_lo, v4, v0
	s_delay_alu instid0(VALU_DEP_2) | instskip(SKIP_1) | instid1(VALU_DEP_1)
	v_add_nc_u32_e32 v1, v1, v3
	s_wait_alu 0xfffd
	v_add_co_ci_u32_e64 v5, null, v5, v1, vcc_lo
	global_store_b64 v[4:5], v[13:14], off
	global_wb scope:SCOPE_SYS
	s_wait_storecnt 0x0
	global_atomic_cmpswap_b64 v[2:3], v10, v[11:14], s[6:7] offset:32 th:TH_ATOMIC_RETURN scope:SCOPE_SYS
	s_wait_loadcnt 0x0
	v_cmpx_ne_u64_e64 v[2:3], v[13:14]
	s_cbranch_execz .LBB5_333
; %bb.331:
	s_mov_b32 s11, 0
.LBB5_332:                              ; =>This Inner Loop Header: Depth=1
	v_dual_mov_b32 v0, s8 :: v_dual_mov_b32 v1, s9
	s_sleep 1
	global_store_b64 v[4:5], v[2:3], off
	global_wb scope:SCOPE_SYS
	s_wait_storecnt 0x0
	global_atomic_cmpswap_b64 v[0:1], v10, v[0:3], s[6:7] offset:32 th:TH_ATOMIC_RETURN scope:SCOPE_SYS
	s_wait_loadcnt 0x0
	v_cmp_eq_u64_e32 vcc_lo, v[0:1], v[2:3]
	v_dual_mov_b32 v3, v1 :: v_dual_mov_b32 v2, v0
	s_wait_alu 0xfffe
	s_or_b32 s11, vcc_lo, s11
	s_wait_alu 0xfffe
	s_and_not1_b32 exec_lo, exec_lo, s11
	s_cbranch_execnz .LBB5_332
.LBB5_333:
	s_wait_alu 0xfffe
	s_or_b32 exec_lo, exec_lo, s10
	v_mov_b32_e32 v3, 0
	s_mov_b32 s11, exec_lo
	s_mov_b32 s10, exec_lo
	s_wait_alu 0xfffe
	v_mbcnt_lo_u32_b32 v2, s11, 0
	global_load_b64 v[0:1], v3, s[6:7] offset:16
	v_cmpx_eq_u32_e32 0, v2
	s_cbranch_execz .LBB5_335
; %bb.334:
	s_bcnt1_i32_b32 s11, s11
	s_wait_alu 0xfffe
	v_mov_b32_e32 v2, s11
	global_wb scope:SCOPE_SYS
	s_wait_loadcnt 0x0
	s_wait_storecnt 0x0
	global_atomic_add_u64 v[0:1], v[2:3], off offset:8 scope:SCOPE_SYS
.LBB5_335:
	s_or_b32 exec_lo, exec_lo, s10
	s_wait_loadcnt 0x0
	global_load_b64 v[2:3], v[0:1], off offset:16
	s_wait_loadcnt 0x0
	v_cmp_eq_u64_e32 vcc_lo, 0, v[2:3]
	s_cbranch_vccnz .LBB5_337
; %bb.336:
	global_load_b32 v0, v[0:1], off offset:24
	v_mov_b32_e32 v1, 0
	s_wait_loadcnt 0x0
	v_readfirstlane_b32 s10, v0
	global_wb scope:SCOPE_SYS
	s_wait_storecnt 0x0
	global_store_b64 v[2:3], v[0:1], off scope:SCOPE_SYS
	s_and_b32 m0, s10, 0xffffff
	s_sendmsg sendmsg(MSG_INTERRUPT)
.LBB5_337:
	s_wait_alu 0xfffe
	s_or_b32 exec_lo, exec_lo, s3
	s_branch .LBB5_341
.LBB5_338:                              ;   in Loop: Header=BB5_341 Depth=1
	s_wait_alu 0xfffe
	s_or_b32 exec_lo, exec_lo, s3
	s_delay_alu instid0(VALU_DEP_1)
	v_readfirstlane_b32 s3, v0
	s_cmp_eq_u32 s3, 0
	s_cbranch_scc1 .LBB5_340
; %bb.339:                              ;   in Loop: Header=BB5_341 Depth=1
	s_sleep 1
	s_cbranch_execnz .LBB5_341
	s_branch .LBB5_343
.LBB5_340:
	s_branch .LBB5_343
.LBB5_341:                              ; =>This Inner Loop Header: Depth=1
	v_mov_b32_e32 v0, 1
	s_and_saveexec_b32 s3, s2
	s_cbranch_execz .LBB5_338
; %bb.342:                              ;   in Loop: Header=BB5_341 Depth=1
	global_load_b32 v0, v[8:9], off offset:20 scope:SCOPE_SYS
	s_wait_loadcnt 0x0
	global_inv scope:SCOPE_SYS
	v_and_b32_e32 v0, 1, v0
	s_branch .LBB5_338
.LBB5_343:
	global_load_b64 v[2:3], v[6:7], off
	s_and_saveexec_b32 s10, s2
	s_cbranch_execz .LBB5_347
; %bb.344:
	v_mov_b32_e32 v8, 0
	s_clause 0x2
	global_load_b64 v[0:1], v8, s[6:7] offset:40
	global_load_b64 v[11:12], v8, s[6:7] offset:24 scope:SCOPE_SYS
	global_load_b64 v[4:5], v8, s[6:7]
	s_wait_loadcnt 0x2
	v_readfirstlane_b32 s12, v0
	v_readfirstlane_b32 s13, v1
	s_add_nc_u64 s[2:3], s[12:13], 1
	s_wait_alu 0xfffe
	s_add_nc_u64 s[8:9], s[2:3], s[8:9]
	s_wait_alu 0xfffe
	s_cmp_eq_u64 s[8:9], 0
	s_cselect_b32 s3, s3, s9
	s_cselect_b32 s2, s2, s8
	s_wait_alu 0xfffe
	v_mov_b32_e32 v10, s3
	s_and_b64 s[8:9], s[2:3], s[12:13]
	v_mov_b32_e32 v9, s2
	s_wait_alu 0xfffe
	s_mul_u64 s[8:9], s[8:9], 24
	s_wait_loadcnt 0x0
	s_wait_alu 0xfffe
	v_add_co_u32 v0, vcc_lo, v4, s8
	s_wait_alu 0xfffd
	v_add_co_ci_u32_e64 v1, null, s9, v5, vcc_lo
	global_store_b64 v[0:1], v[11:12], off
	global_wb scope:SCOPE_SYS
	s_wait_storecnt 0x0
	global_atomic_cmpswap_b64 v[6:7], v8, v[9:12], s[6:7] offset:24 th:TH_ATOMIC_RETURN scope:SCOPE_SYS
	s_wait_loadcnt 0x0
	v_cmp_ne_u64_e32 vcc_lo, v[6:7], v[11:12]
	s_and_b32 exec_lo, exec_lo, vcc_lo
	s_cbranch_execz .LBB5_347
; %bb.345:
	s_mov_b32 s8, 0
.LBB5_346:                              ; =>This Inner Loop Header: Depth=1
	v_dual_mov_b32 v4, s2 :: v_dual_mov_b32 v5, s3
	s_sleep 1
	global_store_b64 v[0:1], v[6:7], off
	global_wb scope:SCOPE_SYS
	s_wait_storecnt 0x0
	global_atomic_cmpswap_b64 v[4:5], v8, v[4:7], s[6:7] offset:24 th:TH_ATOMIC_RETURN scope:SCOPE_SYS
	s_wait_loadcnt 0x0
	v_cmp_eq_u64_e32 vcc_lo, v[4:5], v[6:7]
	v_dual_mov_b32 v7, v5 :: v_dual_mov_b32 v6, v4
	s_wait_alu 0xfffe
	s_or_b32 s8, vcc_lo, s8
	s_wait_alu 0xfffe
	s_and_not1_b32 exec_lo, exec_lo, s8
	s_cbranch_execnz .LBB5_346
.LBB5_347:
	s_wait_alu 0xfffe
	s_or_b32 exec_lo, exec_lo, s10
.LBB5_348:
	v_readfirstlane_b32 s2, v33
	s_wait_loadcnt 0x0
	v_mov_b32_e32 v0, 0
	v_mov_b32_e32 v1, 0
	s_wait_alu 0xf1ff
	v_cmp_eq_u32_e64 s2, s2, v33
	s_and_saveexec_b32 s3, s2
	s_cbranch_execz .LBB5_354
; %bb.349:
	v_mov_b32_e32 v4, 0
	s_mov_b32 s8, exec_lo
	global_load_b64 v[7:8], v4, s[6:7] offset:24 scope:SCOPE_SYS
	s_wait_loadcnt 0x0
	global_inv scope:SCOPE_SYS
	s_clause 0x1
	global_load_b64 v[0:1], v4, s[6:7] offset:40
	global_load_b64 v[5:6], v4, s[6:7]
	s_wait_loadcnt 0x1
	v_and_b32_e32 v1, v1, v8
	v_and_b32_e32 v0, v0, v7
	s_delay_alu instid0(VALU_DEP_2) | instskip(NEXT) | instid1(VALU_DEP_2)
	v_mul_lo_u32 v1, 24, v1
	v_mul_lo_u32 v9, 0, v0
	v_mul_hi_u32 v10, 24, v0
	v_mul_lo_u32 v0, 24, v0
	s_delay_alu instid0(VALU_DEP_3) | instskip(SKIP_1) | instid1(VALU_DEP_2)
	v_add_nc_u32_e32 v1, v1, v9
	s_wait_loadcnt 0x0
	v_add_co_u32 v0, vcc_lo, v5, v0
	s_delay_alu instid0(VALU_DEP_2) | instskip(SKIP_1) | instid1(VALU_DEP_1)
	v_add_nc_u32_e32 v1, v1, v10
	s_wait_alu 0xfffd
	v_add_co_ci_u32_e64 v1, null, v6, v1, vcc_lo
	global_load_b64 v[5:6], v[0:1], off scope:SCOPE_SYS
	s_wait_loadcnt 0x0
	global_atomic_cmpswap_b64 v[0:1], v4, v[5:8], s[6:7] offset:24 th:TH_ATOMIC_RETURN scope:SCOPE_SYS
	s_wait_loadcnt 0x0
	global_inv scope:SCOPE_SYS
	v_cmpx_ne_u64_e64 v[0:1], v[7:8]
	s_cbranch_execz .LBB5_353
; %bb.350:
	s_mov_b32 s9, 0
.LBB5_351:                              ; =>This Inner Loop Header: Depth=1
	s_sleep 1
	s_clause 0x1
	global_load_b64 v[5:6], v4, s[6:7] offset:40
	global_load_b64 v[9:10], v4, s[6:7]
	v_dual_mov_b32 v8, v1 :: v_dual_mov_b32 v7, v0
	s_wait_loadcnt 0x1
	s_delay_alu instid0(VALU_DEP_1) | instskip(NEXT) | instid1(VALU_DEP_2)
	v_and_b32_e32 v0, v5, v7
	v_and_b32_e32 v5, v6, v8
	s_wait_loadcnt 0x0
	s_delay_alu instid0(VALU_DEP_2) | instskip(NEXT) | instid1(VALU_DEP_1)
	v_mad_co_u64_u32 v[0:1], null, v0, 24, v[9:10]
	v_mad_co_u64_u32 v[5:6], null, v5, 24, v[1:2]
	s_delay_alu instid0(VALU_DEP_1)
	v_mov_b32_e32 v1, v5
	global_load_b64 v[5:6], v[0:1], off scope:SCOPE_SYS
	s_wait_loadcnt 0x0
	global_atomic_cmpswap_b64 v[0:1], v4, v[5:8], s[6:7] offset:24 th:TH_ATOMIC_RETURN scope:SCOPE_SYS
	s_wait_loadcnt 0x0
	global_inv scope:SCOPE_SYS
	v_cmp_eq_u64_e32 vcc_lo, v[0:1], v[7:8]
	s_wait_alu 0xfffe
	s_or_b32 s9, vcc_lo, s9
	s_wait_alu 0xfffe
	s_and_not1_b32 exec_lo, exec_lo, s9
	s_cbranch_execnz .LBB5_351
; %bb.352:
	s_or_b32 exec_lo, exec_lo, s9
.LBB5_353:
	s_wait_alu 0xfffe
	s_or_b32 exec_lo, exec_lo, s8
.LBB5_354:
	s_wait_alu 0xfffe
	s_or_b32 exec_lo, exec_lo, s3
	v_readfirstlane_b32 s8, v0
	v_mov_b32_e32 v5, 0
	v_readfirstlane_b32 s9, v1
	s_mov_b32 s3, exec_lo
	s_clause 0x1
	global_load_b64 v[10:11], v5, s[6:7] offset:40
	global_load_b128 v[6:9], v5, s[6:7]
	s_wait_loadcnt 0x1
	s_wait_alu 0xf1ff
	v_and_b32_e32 v1, s9, v11
	v_and_b32_e32 v0, s8, v10
	s_delay_alu instid0(VALU_DEP_2) | instskip(NEXT) | instid1(VALU_DEP_2)
	v_mul_lo_u32 v4, 24, v1
	v_mul_lo_u32 v10, 0, v0
	v_mul_hi_u32 v11, 24, v0
	v_mul_lo_u32 v12, 24, v0
	s_delay_alu instid0(VALU_DEP_3) | instskip(SKIP_1) | instid1(VALU_DEP_2)
	v_add_nc_u32_e32 v4, v4, v10
	s_wait_loadcnt 0x0
	v_add_co_u32 v10, vcc_lo, v6, v12
	s_delay_alu instid0(VALU_DEP_2) | instskip(SKIP_1) | instid1(VALU_DEP_1)
	v_add_nc_u32_e32 v4, v4, v11
	s_wait_alu 0xfffd
	v_add_co_ci_u32_e64 v11, null, v7, v4, vcc_lo
	s_and_saveexec_b32 s10, s2
	s_cbranch_execz .LBB5_356
; %bb.355:
	s_wait_alu 0xfffe
	v_dual_mov_b32 v4, s3 :: v_dual_mov_b32 v15, 1
	v_dual_mov_b32 v14, 2 :: v_dual_mov_b32 v13, v5
	s_delay_alu instid0(VALU_DEP_2)
	v_mov_b32_e32 v12, v4
	global_store_b128 v[10:11], v[12:15], off offset:8
.LBB5_356:
	s_wait_alu 0xfffe
	s_or_b32 exec_lo, exec_lo, s10
	v_lshlrev_b64_e32 v[0:1], 12, v[0:1]
	s_mov_b32 s12, 0
	s_lshr_b32 s3, s20, 4
	s_wait_alu 0xfffe
	s_mov_b32 s13, s12
	s_mov_b32 s14, s12
	;; [unrolled: 1-line block ×3, first 2 shown]
	v_add_co_u32 v0, vcc_lo, v8, v0
	s_wait_alu 0xfffd
	v_add_co_ci_u32_e64 v1, null, v9, v1, vcc_lo
	v_and_or_b32 v2, 0xffffff1f, v2, 32
	s_delay_alu instid0(VALU_DEP_3)
	v_add_co_u32 v8, vcc_lo, v0, v32
	v_mov_b32_e32 v4, s3
	v_readfirstlane_b32 s10, v0
	v_readfirstlane_b32 s11, v1
	s_wait_alu 0xfffe
	v_dual_mov_b32 v12, s12 :: v_dual_mov_b32 v15, s15
	s_wait_alu 0xfffd
	v_add_co_ci_u32_e64 v9, null, 0, v1, vcc_lo
	v_dual_mov_b32 v13, s13 :: v_dual_mov_b32 v14, s14
	s_clause 0x3
	global_store_b128 v32, v[2:5], s[10:11]
	global_store_b128 v32, v[12:15], s[10:11] offset:16
	global_store_b128 v32, v[12:15], s[10:11] offset:32
	;; [unrolled: 1-line block ×3, first 2 shown]
	s_and_saveexec_b32 s3, s2
	s_cbranch_execz .LBB5_364
; %bb.357:
	v_mov_b32_e32 v12, 0
	s_mov_b32 s10, exec_lo
	s_clause 0x1
	global_load_b64 v[15:16], v12, s[6:7] offset:32 scope:SCOPE_SYS
	global_load_b64 v[0:1], v12, s[6:7] offset:40
	v_dual_mov_b32 v13, s8 :: v_dual_mov_b32 v14, s9
	s_wait_loadcnt 0x0
	v_and_b32_e32 v1, s9, v1
	v_and_b32_e32 v0, s8, v0
	s_delay_alu instid0(VALU_DEP_2) | instskip(NEXT) | instid1(VALU_DEP_2)
	v_mul_lo_u32 v1, 24, v1
	v_mul_lo_u32 v2, 0, v0
	v_mul_hi_u32 v3, 24, v0
	v_mul_lo_u32 v0, 24, v0
	s_delay_alu instid0(VALU_DEP_3) | instskip(NEXT) | instid1(VALU_DEP_2)
	v_add_nc_u32_e32 v1, v1, v2
	v_add_co_u32 v4, vcc_lo, v6, v0
	s_delay_alu instid0(VALU_DEP_2) | instskip(SKIP_1) | instid1(VALU_DEP_1)
	v_add_nc_u32_e32 v1, v1, v3
	s_wait_alu 0xfffd
	v_add_co_ci_u32_e64 v5, null, v7, v1, vcc_lo
	global_store_b64 v[4:5], v[15:16], off
	global_wb scope:SCOPE_SYS
	s_wait_storecnt 0x0
	global_atomic_cmpswap_b64 v[2:3], v12, v[13:16], s[6:7] offset:32 th:TH_ATOMIC_RETURN scope:SCOPE_SYS
	s_wait_loadcnt 0x0
	v_cmpx_ne_u64_e64 v[2:3], v[15:16]
	s_cbranch_execz .LBB5_360
; %bb.358:
	s_mov_b32 s11, 0
.LBB5_359:                              ; =>This Inner Loop Header: Depth=1
	v_dual_mov_b32 v0, s8 :: v_dual_mov_b32 v1, s9
	s_sleep 1
	global_store_b64 v[4:5], v[2:3], off
	global_wb scope:SCOPE_SYS
	s_wait_storecnt 0x0
	global_atomic_cmpswap_b64 v[0:1], v12, v[0:3], s[6:7] offset:32 th:TH_ATOMIC_RETURN scope:SCOPE_SYS
	s_wait_loadcnt 0x0
	v_cmp_eq_u64_e32 vcc_lo, v[0:1], v[2:3]
	v_dual_mov_b32 v3, v1 :: v_dual_mov_b32 v2, v0
	s_wait_alu 0xfffe
	s_or_b32 s11, vcc_lo, s11
	s_wait_alu 0xfffe
	s_and_not1_b32 exec_lo, exec_lo, s11
	s_cbranch_execnz .LBB5_359
.LBB5_360:
	s_wait_alu 0xfffe
	s_or_b32 exec_lo, exec_lo, s10
	v_mov_b32_e32 v3, 0
	s_mov_b32 s11, exec_lo
	s_mov_b32 s10, exec_lo
	s_wait_alu 0xfffe
	v_mbcnt_lo_u32_b32 v2, s11, 0
	global_load_b64 v[0:1], v3, s[6:7] offset:16
	v_cmpx_eq_u32_e32 0, v2
	s_cbranch_execz .LBB5_362
; %bb.361:
	s_bcnt1_i32_b32 s11, s11
	s_wait_alu 0xfffe
	v_mov_b32_e32 v2, s11
	global_wb scope:SCOPE_SYS
	s_wait_loadcnt 0x0
	s_wait_storecnt 0x0
	global_atomic_add_u64 v[0:1], v[2:3], off offset:8 scope:SCOPE_SYS
.LBB5_362:
	s_or_b32 exec_lo, exec_lo, s10
	s_wait_loadcnt 0x0
	global_load_b64 v[2:3], v[0:1], off offset:16
	s_wait_loadcnt 0x0
	v_cmp_eq_u64_e32 vcc_lo, 0, v[2:3]
	s_cbranch_vccnz .LBB5_364
; %bb.363:
	global_load_b32 v0, v[0:1], off offset:24
	v_mov_b32_e32 v1, 0
	s_wait_loadcnt 0x0
	v_readfirstlane_b32 s10, v0
	global_wb scope:SCOPE_SYS
	s_wait_storecnt 0x0
	global_store_b64 v[2:3], v[0:1], off scope:SCOPE_SYS
	s_and_b32 m0, s10, 0xffffff
	s_sendmsg sendmsg(MSG_INTERRUPT)
.LBB5_364:
	s_wait_alu 0xfffe
	s_or_b32 exec_lo, exec_lo, s3
	s_branch .LBB5_368
.LBB5_365:                              ;   in Loop: Header=BB5_368 Depth=1
	s_wait_alu 0xfffe
	s_or_b32 exec_lo, exec_lo, s3
	s_delay_alu instid0(VALU_DEP_1)
	v_readfirstlane_b32 s3, v0
	s_cmp_eq_u32 s3, 0
	s_cbranch_scc1 .LBB5_367
; %bb.366:                              ;   in Loop: Header=BB5_368 Depth=1
	s_sleep 1
	s_cbranch_execnz .LBB5_368
	s_branch .LBB5_370
.LBB5_367:
	s_branch .LBB5_370
.LBB5_368:                              ; =>This Inner Loop Header: Depth=1
	v_mov_b32_e32 v0, 1
	s_and_saveexec_b32 s3, s2
	s_cbranch_execz .LBB5_365
; %bb.369:                              ;   in Loop: Header=BB5_368 Depth=1
	global_load_b32 v0, v[10:11], off offset:20 scope:SCOPE_SYS
	s_wait_loadcnt 0x0
	global_inv scope:SCOPE_SYS
	v_and_b32_e32 v0, 1, v0
	s_branch .LBB5_365
.LBB5_370:
	global_load_b64 v[0:1], v[8:9], off
	s_and_saveexec_b32 s10, s2
	s_cbranch_execz .LBB5_374
; %bb.371:
	v_mov_b32_e32 v8, 0
	s_clause 0x2
	global_load_b64 v[2:3], v8, s[6:7] offset:40
	global_load_b64 v[11:12], v8, s[6:7] offset:24 scope:SCOPE_SYS
	global_load_b64 v[4:5], v8, s[6:7]
	s_wait_loadcnt 0x2
	v_readfirstlane_b32 s12, v2
	v_readfirstlane_b32 s13, v3
	s_add_nc_u64 s[2:3], s[12:13], 1
	s_wait_alu 0xfffe
	s_add_nc_u64 s[8:9], s[2:3], s[8:9]
	s_wait_alu 0xfffe
	s_cmp_eq_u64 s[8:9], 0
	s_cselect_b32 s3, s3, s9
	s_cselect_b32 s2, s2, s8
	s_wait_alu 0xfffe
	v_mov_b32_e32 v10, s3
	s_and_b64 s[8:9], s[2:3], s[12:13]
	v_mov_b32_e32 v9, s2
	s_wait_alu 0xfffe
	s_mul_u64 s[8:9], s[8:9], 24
	s_wait_loadcnt 0x0
	s_wait_alu 0xfffe
	v_add_co_u32 v6, vcc_lo, v4, s8
	s_wait_alu 0xfffd
	v_add_co_ci_u32_e64 v7, null, s9, v5, vcc_lo
	global_store_b64 v[6:7], v[11:12], off
	global_wb scope:SCOPE_SYS
	s_wait_storecnt 0x0
	global_atomic_cmpswap_b64 v[4:5], v8, v[9:12], s[6:7] offset:24 th:TH_ATOMIC_RETURN scope:SCOPE_SYS
	s_wait_loadcnt 0x0
	v_cmp_ne_u64_e32 vcc_lo, v[4:5], v[11:12]
	s_and_b32 exec_lo, exec_lo, vcc_lo
	s_cbranch_execz .LBB5_374
; %bb.372:
	s_mov_b32 s8, 0
.LBB5_373:                              ; =>This Inner Loop Header: Depth=1
	v_dual_mov_b32 v2, s2 :: v_dual_mov_b32 v3, s3
	s_sleep 1
	global_store_b64 v[6:7], v[4:5], off
	global_wb scope:SCOPE_SYS
	s_wait_storecnt 0x0
	global_atomic_cmpswap_b64 v[2:3], v8, v[2:5], s[6:7] offset:24 th:TH_ATOMIC_RETURN scope:SCOPE_SYS
	s_wait_loadcnt 0x0
	v_cmp_eq_u64_e32 vcc_lo, v[2:3], v[4:5]
	v_dual_mov_b32 v5, v3 :: v_dual_mov_b32 v4, v2
	s_wait_alu 0xfffe
	s_or_b32 s8, vcc_lo, s8
	s_wait_alu 0xfffe
	s_and_not1_b32 exec_lo, exec_lo, s8
	s_cbranch_execnz .LBB5_373
.LBB5_374:
	s_wait_alu 0xfffe
	s_or_b32 exec_lo, exec_lo, s10
	v_readfirstlane_b32 s2, v33
	v_mov_b32_e32 v8, 0
	v_mov_b32_e32 v9, 0
	s_wait_alu 0xf1ff
	s_delay_alu instid0(VALU_DEP_3)
	v_cmp_eq_u32_e64 s2, s2, v33
	s_and_saveexec_b32 s3, s2
	s_cbranch_execz .LBB5_380
; %bb.375:
	v_mov_b32_e32 v2, 0
	s_mov_b32 s8, exec_lo
	global_load_b64 v[5:6], v2, s[6:7] offset:24 scope:SCOPE_SYS
	s_wait_loadcnt 0x0
	global_inv scope:SCOPE_SYS
	s_clause 0x1
	global_load_b64 v[3:4], v2, s[6:7] offset:40
	global_load_b64 v[7:8], v2, s[6:7]
	s_wait_loadcnt 0x1
	v_and_b32_e32 v4, v4, v6
	v_and_b32_e32 v3, v3, v5
	s_delay_alu instid0(VALU_DEP_2) | instskip(NEXT) | instid1(VALU_DEP_2)
	v_mul_lo_u32 v4, 24, v4
	v_mul_lo_u32 v9, 0, v3
	v_mul_hi_u32 v10, 24, v3
	v_mul_lo_u32 v3, 24, v3
	s_delay_alu instid0(VALU_DEP_3) | instskip(SKIP_1) | instid1(VALU_DEP_2)
	v_add_nc_u32_e32 v4, v4, v9
	s_wait_loadcnt 0x0
	v_add_co_u32 v3, vcc_lo, v7, v3
	s_delay_alu instid0(VALU_DEP_2) | instskip(SKIP_1) | instid1(VALU_DEP_1)
	v_add_nc_u32_e32 v4, v4, v10
	s_wait_alu 0xfffd
	v_add_co_ci_u32_e64 v4, null, v8, v4, vcc_lo
	global_load_b64 v[3:4], v[3:4], off scope:SCOPE_SYS
	s_wait_loadcnt 0x0
	global_atomic_cmpswap_b64 v[8:9], v2, v[3:6], s[6:7] offset:24 th:TH_ATOMIC_RETURN scope:SCOPE_SYS
	s_wait_loadcnt 0x0
	global_inv scope:SCOPE_SYS
	v_cmpx_ne_u64_e64 v[8:9], v[5:6]
	s_cbranch_execz .LBB5_379
; %bb.376:
	s_mov_b32 s9, 0
.LBB5_377:                              ; =>This Inner Loop Header: Depth=1
	s_sleep 1
	s_clause 0x1
	global_load_b64 v[3:4], v2, s[6:7] offset:40
	global_load_b64 v[10:11], v2, s[6:7]
	v_dual_mov_b32 v5, v8 :: v_dual_mov_b32 v6, v9
	s_wait_loadcnt 0x1
	s_delay_alu instid0(VALU_DEP_1) | instskip(NEXT) | instid1(VALU_DEP_2)
	v_and_b32_e32 v3, v3, v5
	v_and_b32_e32 v4, v4, v6
	s_wait_loadcnt 0x0
	s_delay_alu instid0(VALU_DEP_2) | instskip(NEXT) | instid1(VALU_DEP_1)
	v_mad_co_u64_u32 v[7:8], null, v3, 24, v[10:11]
	v_mov_b32_e32 v3, v8
	s_delay_alu instid0(VALU_DEP_1) | instskip(NEXT) | instid1(VALU_DEP_1)
	v_mad_co_u64_u32 v[3:4], null, v4, 24, v[3:4]
	v_mov_b32_e32 v8, v3
	global_load_b64 v[3:4], v[7:8], off scope:SCOPE_SYS
	s_wait_loadcnt 0x0
	global_atomic_cmpswap_b64 v[8:9], v2, v[3:6], s[6:7] offset:24 th:TH_ATOMIC_RETURN scope:SCOPE_SYS
	s_wait_loadcnt 0x0
	global_inv scope:SCOPE_SYS
	v_cmp_eq_u64_e32 vcc_lo, v[8:9], v[5:6]
	s_wait_alu 0xfffe
	s_or_b32 s9, vcc_lo, s9
	s_wait_alu 0xfffe
	s_and_not1_b32 exec_lo, exec_lo, s9
	s_cbranch_execnz .LBB5_377
; %bb.378:
	s_or_b32 exec_lo, exec_lo, s9
.LBB5_379:
	s_wait_alu 0xfffe
	s_or_b32 exec_lo, exec_lo, s8
.LBB5_380:
	s_wait_alu 0xfffe
	s_or_b32 exec_lo, exec_lo, s3
	v_readfirstlane_b32 s8, v8
	v_mov_b32_e32 v3, 0
	v_readfirstlane_b32 s9, v9
	s_mov_b32 s3, exec_lo
	s_clause 0x1
	global_load_b64 v[10:11], v3, s[6:7] offset:40
	global_load_b128 v[4:7], v3, s[6:7]
	s_wait_loadcnt 0x1
	s_wait_alu 0xf1ff
	v_and_b32_e32 v11, s9, v11
	v_and_b32_e32 v10, s8, v10
	s_delay_alu instid0(VALU_DEP_2) | instskip(NEXT) | instid1(VALU_DEP_2)
	v_mul_lo_u32 v2, 24, v11
	v_mul_lo_u32 v8, 0, v10
	v_mul_hi_u32 v9, 24, v10
	v_mul_lo_u32 v12, 24, v10
	s_delay_alu instid0(VALU_DEP_3) | instskip(SKIP_1) | instid1(VALU_DEP_2)
	v_add_nc_u32_e32 v2, v2, v8
	s_wait_loadcnt 0x0
	v_add_co_u32 v8, vcc_lo, v4, v12
	s_delay_alu instid0(VALU_DEP_2) | instskip(SKIP_1) | instid1(VALU_DEP_1)
	v_add_nc_u32_e32 v2, v2, v9
	s_wait_alu 0xfffd
	v_add_co_ci_u32_e64 v9, null, v5, v2, vcc_lo
	s_and_saveexec_b32 s10, s2
	s_cbranch_execz .LBB5_382
; %bb.381:
	s_wait_alu 0xfffe
	v_dual_mov_b32 v2, s3 :: v_dual_mov_b32 v15, 1
	v_dual_mov_b32 v14, 2 :: v_dual_mov_b32 v13, v3
	s_delay_alu instid0(VALU_DEP_2)
	v_mov_b32_e32 v12, v2
	global_store_b128 v[8:9], v[12:15], off offset:8
.LBB5_382:
	s_wait_alu 0xfffe
	s_or_b32 exec_lo, exec_lo, s10
	v_lshlrev_b64_e32 v[10:11], 12, v[10:11]
	s_mov_b32 s12, 0
	v_and_or_b32 v0, 0xffffff1d, v0, 34
	s_wait_alu 0xfffe
	s_mov_b32 s13, s12
	s_mov_b32 s14, s12
	s_mov_b32 s15, s12
	v_add_co_u32 v6, vcc_lo, v6, v10
	s_wait_alu 0xfffd
	v_add_co_ci_u32_e64 v7, null, v7, v11, vcc_lo
	v_mov_b32_e32 v2, 16
	s_delay_alu instid0(VALU_DEP_3)
	v_readfirstlane_b32 s10, v6
	s_wait_alu 0xfffe
	v_dual_mov_b32 v10, s12 :: v_dual_mov_b32 v13, s15
	v_readfirstlane_b32 s11, v7
	v_dual_mov_b32 v11, s13 :: v_dual_mov_b32 v12, s14
	s_clause 0x3
	global_store_b128 v32, v[0:3], s[10:11]
	global_store_b128 v32, v[10:13], s[10:11] offset:16
	global_store_b128 v32, v[10:13], s[10:11] offset:32
	;; [unrolled: 1-line block ×3, first 2 shown]
	s_and_saveexec_b32 s3, s2
	s_cbranch_execz .LBB5_390
; %bb.383:
	v_mov_b32_e32 v6, 0
	s_mov_b32 s10, exec_lo
	s_clause 0x1
	global_load_b64 v[12:13], v6, s[6:7] offset:32 scope:SCOPE_SYS
	global_load_b64 v[0:1], v6, s[6:7] offset:40
	v_dual_mov_b32 v11, s9 :: v_dual_mov_b32 v10, s8
	s_wait_loadcnt 0x0
	v_and_b32_e32 v1, s9, v1
	v_and_b32_e32 v0, s8, v0
	s_delay_alu instid0(VALU_DEP_2) | instskip(NEXT) | instid1(VALU_DEP_2)
	v_mul_lo_u32 v1, 24, v1
	v_mul_lo_u32 v2, 0, v0
	v_mul_hi_u32 v3, 24, v0
	v_mul_lo_u32 v0, 24, v0
	s_delay_alu instid0(VALU_DEP_3) | instskip(NEXT) | instid1(VALU_DEP_2)
	v_add_nc_u32_e32 v1, v1, v2
	v_add_co_u32 v4, vcc_lo, v4, v0
	s_delay_alu instid0(VALU_DEP_2) | instskip(SKIP_1) | instid1(VALU_DEP_1)
	v_add_nc_u32_e32 v1, v1, v3
	s_wait_alu 0xfffd
	v_add_co_ci_u32_e64 v5, null, v5, v1, vcc_lo
	global_store_b64 v[4:5], v[12:13], off
	global_wb scope:SCOPE_SYS
	s_wait_storecnt 0x0
	global_atomic_cmpswap_b64 v[2:3], v6, v[10:13], s[6:7] offset:32 th:TH_ATOMIC_RETURN scope:SCOPE_SYS
	s_wait_loadcnt 0x0
	v_cmpx_ne_u64_e64 v[2:3], v[12:13]
	s_cbranch_execz .LBB5_386
; %bb.384:
	s_mov_b32 s11, 0
.LBB5_385:                              ; =>This Inner Loop Header: Depth=1
	v_dual_mov_b32 v0, s8 :: v_dual_mov_b32 v1, s9
	s_sleep 1
	global_store_b64 v[4:5], v[2:3], off
	global_wb scope:SCOPE_SYS
	s_wait_storecnt 0x0
	global_atomic_cmpswap_b64 v[0:1], v6, v[0:3], s[6:7] offset:32 th:TH_ATOMIC_RETURN scope:SCOPE_SYS
	s_wait_loadcnt 0x0
	v_cmp_eq_u64_e32 vcc_lo, v[0:1], v[2:3]
	v_dual_mov_b32 v3, v1 :: v_dual_mov_b32 v2, v0
	s_wait_alu 0xfffe
	s_or_b32 s11, vcc_lo, s11
	s_wait_alu 0xfffe
	s_and_not1_b32 exec_lo, exec_lo, s11
	s_cbranch_execnz .LBB5_385
.LBB5_386:
	s_wait_alu 0xfffe
	s_or_b32 exec_lo, exec_lo, s10
	v_mov_b32_e32 v3, 0
	s_mov_b32 s11, exec_lo
	s_mov_b32 s10, exec_lo
	s_wait_alu 0xfffe
	v_mbcnt_lo_u32_b32 v2, s11, 0
	global_load_b64 v[0:1], v3, s[6:7] offset:16
	v_cmpx_eq_u32_e32 0, v2
	s_cbranch_execz .LBB5_388
; %bb.387:
	s_bcnt1_i32_b32 s11, s11
	s_wait_alu 0xfffe
	v_mov_b32_e32 v2, s11
	global_wb scope:SCOPE_SYS
	s_wait_loadcnt 0x0
	s_wait_storecnt 0x0
	global_atomic_add_u64 v[0:1], v[2:3], off offset:8 scope:SCOPE_SYS
.LBB5_388:
	s_or_b32 exec_lo, exec_lo, s10
	s_wait_loadcnt 0x0
	global_load_b64 v[2:3], v[0:1], off offset:16
	s_wait_loadcnt 0x0
	v_cmp_eq_u64_e32 vcc_lo, 0, v[2:3]
	s_cbranch_vccnz .LBB5_390
; %bb.389:
	global_load_b32 v0, v[0:1], off offset:24
	v_mov_b32_e32 v1, 0
	s_wait_loadcnt 0x0
	v_readfirstlane_b32 s10, v0
	global_wb scope:SCOPE_SYS
	s_wait_storecnt 0x0
	global_store_b64 v[2:3], v[0:1], off scope:SCOPE_SYS
	s_and_b32 m0, s10, 0xffffff
	s_sendmsg sendmsg(MSG_INTERRUPT)
.LBB5_390:
	s_wait_alu 0xfffe
	s_or_b32 exec_lo, exec_lo, s3
	s_branch .LBB5_394
.LBB5_391:                              ;   in Loop: Header=BB5_394 Depth=1
	s_wait_alu 0xfffe
	s_or_b32 exec_lo, exec_lo, s3
	s_delay_alu instid0(VALU_DEP_1)
	v_readfirstlane_b32 s3, v0
	s_cmp_eq_u32 s3, 0
	s_cbranch_scc1 .LBB5_393
; %bb.392:                              ;   in Loop: Header=BB5_394 Depth=1
	s_sleep 1
	s_cbranch_execnz .LBB5_394
	s_branch .LBB5_396
.LBB5_393:
	s_branch .LBB5_396
.LBB5_394:                              ; =>This Inner Loop Header: Depth=1
	v_mov_b32_e32 v0, 1
	s_and_saveexec_b32 s3, s2
	s_cbranch_execz .LBB5_391
; %bb.395:                              ;   in Loop: Header=BB5_394 Depth=1
	global_load_b32 v0, v[8:9], off offset:20 scope:SCOPE_SYS
	s_wait_loadcnt 0x0
	global_inv scope:SCOPE_SYS
	v_and_b32_e32 v0, 1, v0
	s_branch .LBB5_391
.LBB5_396:
	s_and_b32 exec_lo, exec_lo, s2
	s_cbranch_execz .LBB5_400
; %bb.397:
	v_mov_b32_e32 v6, 0
	s_clause 0x2
	global_load_b64 v[0:1], v6, s[6:7] offset:40
	global_load_b64 v[9:10], v6, s[6:7] offset:24 scope:SCOPE_SYS
	global_load_b64 v[2:3], v6, s[6:7]
	s_wait_loadcnt 0x2
	v_readfirstlane_b32 s10, v0
	v_readfirstlane_b32 s11, v1
	s_add_nc_u64 s[2:3], s[10:11], 1
	s_wait_alu 0xfffe
	s_add_nc_u64 s[8:9], s[2:3], s[8:9]
	s_wait_alu 0xfffe
	s_cmp_eq_u64 s[8:9], 0
	s_cselect_b32 s3, s3, s9
	s_cselect_b32 s2, s2, s8
	s_wait_alu 0xfffe
	v_mov_b32_e32 v8, s3
	s_and_b64 s[8:9], s[2:3], s[10:11]
	v_mov_b32_e32 v7, s2
	s_wait_alu 0xfffe
	s_mul_u64 s[8:9], s[8:9], 24
	s_wait_loadcnt 0x0
	s_wait_alu 0xfffe
	v_add_co_u32 v4, vcc_lo, v2, s8
	s_wait_alu 0xfffd
	v_add_co_ci_u32_e64 v5, null, s9, v3, vcc_lo
	global_store_b64 v[4:5], v[9:10], off
	global_wb scope:SCOPE_SYS
	s_wait_storecnt 0x0
	global_atomic_cmpswap_b64 v[2:3], v6, v[7:10], s[6:7] offset:24 th:TH_ATOMIC_RETURN scope:SCOPE_SYS
	s_wait_loadcnt 0x0
	v_cmp_ne_u64_e32 vcc_lo, v[2:3], v[9:10]
	s_and_b32 exec_lo, exec_lo, vcc_lo
	s_cbranch_execz .LBB5_400
; %bb.398:
	s_mov_b32 s8, 0
.LBB5_399:                              ; =>This Inner Loop Header: Depth=1
	v_dual_mov_b32 v0, s2 :: v_dual_mov_b32 v1, s3
	s_sleep 1
	global_store_b64 v[4:5], v[2:3], off
	global_wb scope:SCOPE_SYS
	s_wait_storecnt 0x0
	global_atomic_cmpswap_b64 v[0:1], v6, v[0:3], s[6:7] offset:24 th:TH_ATOMIC_RETURN scope:SCOPE_SYS
	s_wait_loadcnt 0x0
	v_cmp_eq_u64_e32 vcc_lo, v[0:1], v[2:3]
	v_dual_mov_b32 v3, v1 :: v_dual_mov_b32 v2, v0
	s_wait_alu 0xfffe
	s_or_b32 s8, vcc_lo, s8
	s_wait_alu 0xfffe
	s_and_not1_b32 exec_lo, exec_lo, s8
	s_cbranch_execnz .LBB5_399
.LBB5_400:
	s_wait_alu 0xfffe
	s_or_b32 exec_lo, exec_lo, s23
	v_and_b32_e32 v0, -16, v26
	v_and_b32_e32 v4, 15, v26
	s_mov_b32 s2, exec_lo
	s_wait_loadcnt 0x0
	s_wait_storecnt 0x0
	s_barrier_signal -1
	v_ashrrev_i32_e32 v1, 31, v0
	v_lshlrev_b32_e32 v2, 2, v4
	s_barrier_wait -1
	global_inv scope:SCOPE_SE
	v_lshlrev_b64_e32 v[0:1], 2, v[0:1]
	s_delay_alu instid0(VALU_DEP_1) | instskip(SKIP_1) | instid1(VALU_DEP_2)
	v_add_co_u32 v0, vcc_lo, s22, v0
	s_wait_alu 0xfffd
	v_add_co_ci_u32_e64 v1, null, s21, v1, vcc_lo
	s_delay_alu instid0(VALU_DEP_2) | instskip(SKIP_1) | instid1(VALU_DEP_2)
	v_add_co_u32 v2, vcc_lo, v0, v2
	s_wait_alu 0xfffd
	v_add_co_ci_u32_e64 v3, null, 0, v1, vcc_lo
	flat_store_b32 v[2:3], v26
	s_wait_storecnt 0x0
	s_wait_loadcnt_dscnt 0x0
	global_inv scope:SCOPE_DEV
	v_cmpx_gt_u32_e32 8, v4
	s_cbranch_execz .LBB5_402
; %bb.401:
	flat_load_b32 v5, v[2:3] offset:32
	s_wait_loadcnt_dscnt 0x0
	v_add_nc_u32_e32 v31, v5, v26
.LBB5_402:
	s_wait_alu 0xfffe
	s_or_b32 exec_lo, exec_lo, s2
	s_delay_alu instid0(SALU_CYCLE_1)
	s_mov_b32 s2, exec_lo
	s_wait_loadcnt 0x0
	global_inv scope:SCOPE_DEV
	flat_store_b32 v[2:3], v31
	s_wait_storecnt 0x0
	s_wait_loadcnt_dscnt 0x0
	global_inv scope:SCOPE_DEV
	v_cmpx_gt_u32_e32 4, v4
	s_cbranch_execz .LBB5_404
; %bb.403:
	flat_load_b32 v5, v[2:3] offset:16
	s_wait_loadcnt_dscnt 0x0
	v_add_nc_u32_e32 v31, v5, v31
.LBB5_404:
	s_wait_alu 0xfffe
	s_or_b32 exec_lo, exec_lo, s2
	s_delay_alu instid0(SALU_CYCLE_1)
	s_mov_b32 s2, exec_lo
	s_wait_loadcnt 0x0
	global_inv scope:SCOPE_DEV
	flat_store_b32 v[2:3], v31
	s_wait_storecnt 0x0
	s_wait_loadcnt_dscnt 0x0
	global_inv scope:SCOPE_DEV
	v_cmpx_gt_u32_e32 2, v4
	s_cbranch_execz .LBB5_406
; %bb.405:
	flat_load_b32 v5, v[2:3] offset:8
	s_wait_loadcnt_dscnt 0x0
	v_add_nc_u32_e32 v31, v5, v31
.LBB5_406:
	s_wait_alu 0xfffe
	s_or_b32 exec_lo, exec_lo, s2
	v_cmp_eq_u32_e64 s2, 0, v4
	s_wait_loadcnt 0x0
	global_inv scope:SCOPE_DEV
	flat_store_b32 v[2:3], v31
	s_wait_storecnt 0x0
	s_wait_loadcnt_dscnt 0x0
	global_inv scope:SCOPE_DEV
	s_and_saveexec_b32 s3, s2
	s_cbranch_execnz .LBB5_409
; %bb.407:
	s_wait_alu 0xfffe
	s_or_b32 exec_lo, exec_lo, s3
	s_wait_loadcnt 0x0
	global_inv scope:SCOPE_DEV
	s_and_saveexec_b32 s3, s2
	s_cbranch_execnz .LBB5_410
.LBB5_408:
	s_endpgm
.LBB5_409:
	flat_load_b32 v0, v[0:1] offset:4
	s_wait_loadcnt_dscnt 0x0
	v_add_nc_u32_e32 v31, v0, v31
	s_wait_alu 0xfffe
	s_or_b32 exec_lo, exec_lo, s3
	global_inv scope:SCOPE_DEV
	s_and_saveexec_b32 s3, s2
	s_cbranch_execz .LBB5_408
.LBB5_410:
	s_load_b64 s[4:5], s[4:5], 0x50
	v_mbcnt_lo_u32_b32 v33, -1, 0
	v_mov_b32_e32 v6, 0
	v_mov_b32_e32 v7, 0
	s_delay_alu instid0(VALU_DEP_3) | instskip(SKIP_1) | instid1(VALU_DEP_1)
	v_readfirstlane_b32 s3, v33
	s_wait_alu 0xf1ff
	v_cmp_eq_u32_e64 s3, s3, v33
	s_and_saveexec_b32 s6, s3
	s_cbranch_execz .LBB5_416
; %bb.411:
	v_mov_b32_e32 v0, 0
	s_mov_b32 s7, exec_lo
	s_wait_kmcnt 0x0
	global_load_b64 v[3:4], v0, s[4:5] offset:24 scope:SCOPE_SYS
	s_wait_loadcnt 0x0
	global_inv scope:SCOPE_SYS
	s_clause 0x1
	global_load_b64 v[1:2], v0, s[4:5] offset:40
	global_load_b64 v[5:6], v0, s[4:5]
	s_wait_loadcnt 0x1
	v_and_b32_e32 v2, v2, v4
	v_and_b32_e32 v1, v1, v3
	s_delay_alu instid0(VALU_DEP_2) | instskip(NEXT) | instid1(VALU_DEP_2)
	v_mul_lo_u32 v2, 24, v2
	v_mul_lo_u32 v7, 0, v1
	v_mul_hi_u32 v8, 24, v1
	v_mul_lo_u32 v1, 24, v1
	s_delay_alu instid0(VALU_DEP_3) | instskip(SKIP_1) | instid1(VALU_DEP_2)
	v_add_nc_u32_e32 v2, v2, v7
	s_wait_loadcnt 0x0
	v_add_co_u32 v1, vcc_lo, v5, v1
	s_delay_alu instid0(VALU_DEP_2) | instskip(SKIP_1) | instid1(VALU_DEP_1)
	v_add_nc_u32_e32 v2, v2, v8
	s_wait_alu 0xfffd
	v_add_co_ci_u32_e64 v2, null, v6, v2, vcc_lo
	global_load_b64 v[1:2], v[1:2], off scope:SCOPE_SYS
	s_wait_loadcnt 0x0
	global_atomic_cmpswap_b64 v[6:7], v0, v[1:4], s[4:5] offset:24 th:TH_ATOMIC_RETURN scope:SCOPE_SYS
	s_wait_loadcnt 0x0
	global_inv scope:SCOPE_SYS
	v_cmpx_ne_u64_e64 v[6:7], v[3:4]
	s_cbranch_execz .LBB5_415
; %bb.412:
	s_mov_b32 s8, 0
.LBB5_413:                              ; =>This Inner Loop Header: Depth=1
	s_sleep 1
	s_clause 0x1
	global_load_b64 v[1:2], v0, s[4:5] offset:40
	global_load_b64 v[8:9], v0, s[4:5]
	v_dual_mov_b32 v3, v6 :: v_dual_mov_b32 v4, v7
	s_wait_loadcnt 0x1
	s_delay_alu instid0(VALU_DEP_1) | instskip(NEXT) | instid1(VALU_DEP_2)
	v_and_b32_e32 v1, v1, v3
	v_and_b32_e32 v2, v2, v4
	s_wait_loadcnt 0x0
	s_delay_alu instid0(VALU_DEP_2) | instskip(NEXT) | instid1(VALU_DEP_1)
	v_mad_co_u64_u32 v[5:6], null, v1, 24, v[8:9]
	v_mov_b32_e32 v1, v6
	s_delay_alu instid0(VALU_DEP_1) | instskip(NEXT) | instid1(VALU_DEP_1)
	v_mad_co_u64_u32 v[1:2], null, v2, 24, v[1:2]
	v_mov_b32_e32 v6, v1
	global_load_b64 v[1:2], v[5:6], off scope:SCOPE_SYS
	s_wait_loadcnt 0x0
	global_atomic_cmpswap_b64 v[6:7], v0, v[1:4], s[4:5] offset:24 th:TH_ATOMIC_RETURN scope:SCOPE_SYS
	s_wait_loadcnt 0x0
	global_inv scope:SCOPE_SYS
	v_cmp_eq_u64_e32 vcc_lo, v[6:7], v[3:4]
	s_wait_alu 0xfffe
	s_or_b32 s8, vcc_lo, s8
	s_wait_alu 0xfffe
	s_and_not1_b32 exec_lo, exec_lo, s8
	s_cbranch_execnz .LBB5_413
; %bb.414:
	s_or_b32 exec_lo, exec_lo, s8
.LBB5_415:
	s_wait_alu 0xfffe
	s_or_b32 exec_lo, exec_lo, s7
.LBB5_416:
	s_wait_alu 0xfffe
	s_or_b32 exec_lo, exec_lo, s6
	v_readfirstlane_b32 s6, v6
	v_mov_b32_e32 v5, 0
	v_readfirstlane_b32 s7, v7
	s_mov_b32 s8, exec_lo
	s_wait_kmcnt 0x0
	s_clause 0x1
	global_load_b64 v[8:9], v5, s[4:5] offset:40
	global_load_b128 v[0:3], v5, s[4:5]
	s_wait_loadcnt 0x1
	s_wait_alu 0xf1ff
	v_and_b32_e32 v11, s7, v9
	v_and_b32_e32 v10, s6, v8
	s_delay_alu instid0(VALU_DEP_2) | instskip(NEXT) | instid1(VALU_DEP_2)
	v_mul_lo_u32 v4, 24, v11
	v_mul_lo_u32 v6, 0, v10
	v_mul_hi_u32 v7, 24, v10
	v_mul_lo_u32 v8, 24, v10
	s_delay_alu instid0(VALU_DEP_3) | instskip(SKIP_1) | instid1(VALU_DEP_2)
	v_add_nc_u32_e32 v4, v4, v6
	s_wait_loadcnt 0x0
	v_add_co_u32 v8, vcc_lo, v0, v8
	s_delay_alu instid0(VALU_DEP_2) | instskip(SKIP_1) | instid1(VALU_DEP_1)
	v_add_nc_u32_e32 v4, v4, v7
	s_wait_alu 0xfffd
	v_add_co_ci_u32_e64 v9, null, v1, v4, vcc_lo
	s_and_saveexec_b32 s9, s3
	s_cbranch_execz .LBB5_418
; %bb.417:
	s_wait_alu 0xfffe
	v_dual_mov_b32 v4, s8 :: v_dual_mov_b32 v7, 1
	v_mov_b32_e32 v6, 2
	global_store_b128 v[8:9], v[4:7], off offset:8
.LBB5_418:
	s_wait_alu 0xfffe
	s_or_b32 exec_lo, exec_lo, s9
	v_lshlrev_b64_e32 v[10:11], 12, v[10:11]
	v_dual_mov_b32 v7, v5 :: v_dual_lshlrev_b32 v32, 6, v33
	s_mov_b32 s8, 0
	s_wait_alu 0xfffe
	s_mov_b32 s11, s8
	s_delay_alu instid0(VALU_DEP_2)
	v_add_co_u32 v2, vcc_lo, v2, v10
	s_wait_alu 0xfffd
	v_add_co_ci_u32_e64 v3, null, v3, v11, vcc_lo
	s_mov_b32 s9, s8
	v_add_co_u32 v10, vcc_lo, v2, v32
	s_mov_b32 s10, s8
	s_wait_alu 0xfffe
	v_dual_mov_b32 v4, 33 :: v_dual_mov_b32 v15, s11
	v_dual_mov_b32 v6, v5 :: v_dual_mov_b32 v13, s9
	v_readfirstlane_b32 s12, v2
	v_readfirstlane_b32 s13, v3
	s_wait_alu 0xfffd
	v_add_co_ci_u32_e64 v11, null, 0, v3, vcc_lo
	v_mov_b32_e32 v14, s10
	v_mov_b32_e32 v12, s8
	s_clause 0x3
	global_store_b128 v32, v[4:7], s[12:13]
	global_store_b128 v32, v[12:15], s[12:13] offset:16
	global_store_b128 v32, v[12:15], s[12:13] offset:32
	;; [unrolled: 1-line block ×3, first 2 shown]
	s_and_saveexec_b32 s8, s3
	s_cbranch_execz .LBB5_426
; %bb.419:
	v_mov_b32_e32 v6, 0
	s_mov_b32 s9, exec_lo
	s_clause 0x1
	global_load_b64 v[14:15], v6, s[4:5] offset:32 scope:SCOPE_SYS
	global_load_b64 v[2:3], v6, s[4:5] offset:40
	v_dual_mov_b32 v13, s7 :: v_dual_mov_b32 v12, s6
	s_wait_loadcnt 0x0
	v_and_b32_e32 v3, s7, v3
	v_and_b32_e32 v2, s6, v2
	s_delay_alu instid0(VALU_DEP_2) | instskip(NEXT) | instid1(VALU_DEP_2)
	v_mul_lo_u32 v3, 24, v3
	v_mul_lo_u32 v4, 0, v2
	v_mul_hi_u32 v5, 24, v2
	v_mul_lo_u32 v2, 24, v2
	s_delay_alu instid0(VALU_DEP_3) | instskip(NEXT) | instid1(VALU_DEP_2)
	v_add_nc_u32_e32 v3, v3, v4
	v_add_co_u32 v4, vcc_lo, v0, v2
	s_delay_alu instid0(VALU_DEP_2) | instskip(SKIP_1) | instid1(VALU_DEP_1)
	v_add_nc_u32_e32 v3, v3, v5
	s_wait_alu 0xfffd
	v_add_co_ci_u32_e64 v5, null, v1, v3, vcc_lo
	global_store_b64 v[4:5], v[14:15], off
	global_wb scope:SCOPE_SYS
	s_wait_storecnt 0x0
	global_atomic_cmpswap_b64 v[2:3], v6, v[12:15], s[4:5] offset:32 th:TH_ATOMIC_RETURN scope:SCOPE_SYS
	s_wait_loadcnt 0x0
	v_cmpx_ne_u64_e64 v[2:3], v[14:15]
	s_cbranch_execz .LBB5_422
; %bb.420:
	s_mov_b32 s10, 0
.LBB5_421:                              ; =>This Inner Loop Header: Depth=1
	v_dual_mov_b32 v0, s6 :: v_dual_mov_b32 v1, s7
	s_sleep 1
	global_store_b64 v[4:5], v[2:3], off
	global_wb scope:SCOPE_SYS
	s_wait_storecnt 0x0
	global_atomic_cmpswap_b64 v[0:1], v6, v[0:3], s[4:5] offset:32 th:TH_ATOMIC_RETURN scope:SCOPE_SYS
	s_wait_loadcnt 0x0
	v_cmp_eq_u64_e32 vcc_lo, v[0:1], v[2:3]
	v_dual_mov_b32 v3, v1 :: v_dual_mov_b32 v2, v0
	s_wait_alu 0xfffe
	s_or_b32 s10, vcc_lo, s10
	s_wait_alu 0xfffe
	s_and_not1_b32 exec_lo, exec_lo, s10
	s_cbranch_execnz .LBB5_421
.LBB5_422:
	s_wait_alu 0xfffe
	s_or_b32 exec_lo, exec_lo, s9
	v_mov_b32_e32 v3, 0
	s_mov_b32 s10, exec_lo
	s_mov_b32 s9, exec_lo
	s_wait_alu 0xfffe
	v_mbcnt_lo_u32_b32 v2, s10, 0
	global_load_b64 v[0:1], v3, s[4:5] offset:16
	v_cmpx_eq_u32_e32 0, v2
	s_cbranch_execz .LBB5_424
; %bb.423:
	s_bcnt1_i32_b32 s10, s10
	s_wait_alu 0xfffe
	v_mov_b32_e32 v2, s10
	global_wb scope:SCOPE_SYS
	s_wait_loadcnt 0x0
	s_wait_storecnt 0x0
	global_atomic_add_u64 v[0:1], v[2:3], off offset:8 scope:SCOPE_SYS
.LBB5_424:
	s_or_b32 exec_lo, exec_lo, s9
	s_wait_loadcnt 0x0
	global_load_b64 v[2:3], v[0:1], off offset:16
	s_wait_loadcnt 0x0
	v_cmp_eq_u64_e32 vcc_lo, 0, v[2:3]
	s_cbranch_vccnz .LBB5_426
; %bb.425:
	global_load_b32 v0, v[0:1], off offset:24
	v_mov_b32_e32 v1, 0
	s_wait_loadcnt 0x0
	v_readfirstlane_b32 s9, v0
	global_wb scope:SCOPE_SYS
	s_wait_storecnt 0x0
	global_store_b64 v[2:3], v[0:1], off scope:SCOPE_SYS
	s_and_b32 m0, s9, 0xffffff
	s_sendmsg sendmsg(MSG_INTERRUPT)
.LBB5_426:
	s_wait_alu 0xfffe
	s_or_b32 exec_lo, exec_lo, s8
	s_branch .LBB5_430
.LBB5_427:                              ;   in Loop: Header=BB5_430 Depth=1
	s_wait_alu 0xfffe
	s_or_b32 exec_lo, exec_lo, s8
	s_delay_alu instid0(VALU_DEP_1)
	v_readfirstlane_b32 s8, v0
	s_cmp_eq_u32 s8, 0
	s_cbranch_scc1 .LBB5_429
; %bb.428:                              ;   in Loop: Header=BB5_430 Depth=1
	s_sleep 1
	s_cbranch_execnz .LBB5_430
	s_branch .LBB5_432
.LBB5_429:
	s_branch .LBB5_432
.LBB5_430:                              ; =>This Inner Loop Header: Depth=1
	v_mov_b32_e32 v0, 1
	s_and_saveexec_b32 s8, s3
	s_cbranch_execz .LBB5_427
; %bb.431:                              ;   in Loop: Header=BB5_430 Depth=1
	global_load_b32 v0, v[8:9], off offset:20 scope:SCOPE_SYS
	s_wait_loadcnt 0x0
	global_inv scope:SCOPE_SYS
	v_and_b32_e32 v0, 1, v0
	s_branch .LBB5_427
.LBB5_432:
	global_load_b64 v[0:1], v[10:11], off
	s_and_saveexec_b32 s8, s3
	s_cbranch_execz .LBB5_436
; %bb.433:
	v_mov_b32_e32 v8, 0
	s_clause 0x2
	global_load_b64 v[2:3], v8, s[4:5] offset:40
	global_load_b64 v[11:12], v8, s[4:5] offset:24 scope:SCOPE_SYS
	global_load_b64 v[4:5], v8, s[4:5]
	s_wait_loadcnt 0x2
	v_readfirstlane_b32 s10, v2
	v_readfirstlane_b32 s11, v3
	s_add_nc_u64 s[12:13], s[10:11], 1
	s_wait_alu 0xfffe
	s_add_nc_u64 s[6:7], s[12:13], s[6:7]
	s_wait_alu 0xfffe
	s_cmp_eq_u64 s[6:7], 0
	s_cselect_b32 s7, s13, s7
	s_cselect_b32 s6, s12, s6
	s_wait_alu 0xfffe
	v_mov_b32_e32 v10, s7
	s_and_b64 s[10:11], s[6:7], s[10:11]
	v_mov_b32_e32 v9, s6
	s_wait_alu 0xfffe
	s_mul_u64 s[10:11], s[10:11], 24
	s_wait_loadcnt 0x0
	s_wait_alu 0xfffe
	v_add_co_u32 v6, vcc_lo, v4, s10
	s_wait_alu 0xfffd
	v_add_co_ci_u32_e64 v7, null, s11, v5, vcc_lo
	global_store_b64 v[6:7], v[11:12], off
	global_wb scope:SCOPE_SYS
	s_wait_storecnt 0x0
	global_atomic_cmpswap_b64 v[4:5], v8, v[9:12], s[4:5] offset:24 th:TH_ATOMIC_RETURN scope:SCOPE_SYS
	s_wait_loadcnt 0x0
	v_cmp_ne_u64_e32 vcc_lo, v[4:5], v[11:12]
	s_and_b32 exec_lo, exec_lo, vcc_lo
	s_cbranch_execz .LBB5_436
; %bb.434:
	s_mov_b32 s3, 0
.LBB5_435:                              ; =>This Inner Loop Header: Depth=1
	v_dual_mov_b32 v2, s6 :: v_dual_mov_b32 v3, s7
	s_sleep 1
	global_store_b64 v[6:7], v[4:5], off
	global_wb scope:SCOPE_SYS
	s_wait_storecnt 0x0
	global_atomic_cmpswap_b64 v[2:3], v8, v[2:5], s[4:5] offset:24 th:TH_ATOMIC_RETURN scope:SCOPE_SYS
	s_wait_loadcnt 0x0
	v_cmp_eq_u64_e32 vcc_lo, v[2:3], v[4:5]
	v_dual_mov_b32 v5, v3 :: v_dual_mov_b32 v4, v2
	s_wait_alu 0xfffe
	s_or_b32 s3, vcc_lo, s3
	s_wait_alu 0xfffe
	s_and_not1_b32 exec_lo, exec_lo, s3
	s_cbranch_execnz .LBB5_435
.LBB5_436:
	s_wait_alu 0xfffe
	s_or_b32 exec_lo, exec_lo, s8
	s_getpc_b64 s[6:7]
	s_wait_alu 0xfffe
	s_sext_i32_i16 s7, s7
	s_add_co_u32 s6, s6, .str.9@rel32@lo+12
	s_wait_alu 0xfffe
	s_add_co_ci_u32 s7, s7, .str.9@rel32@hi+24
	s_wait_alu 0xfffe
	s_cmp_lg_u64 s[6:7], 0
	s_cselect_b32 s3, -1, 0
	s_cmp_eq_u64 s[6:7], 0
	s_mov_b64 s[6:7], 0
	s_cbranch_scc1 .LBB5_440
; %bb.437:
	s_getpc_b64 s[6:7]
	s_wait_alu 0xfffe
	s_sext_i32_i16 s7, s7
	s_add_co_u32 s6, s6, .str.9@rel32@lo+11
	s_wait_alu 0xfffe
	s_add_co_ci_u32 s7, s7, .str.9@rel32@hi+23
.LBB5_438:                              ; =>This Inner Loop Header: Depth=1
	s_load_u8 s8, s[6:7], 0x1
	s_add_nc_u64 s[6:7], s[6:7], 1
	s_wait_kmcnt 0x0
	s_cmp_lg_u32 s8, 0
	s_cbranch_scc1 .LBB5_438
; %bb.439:
	s_getpc_b64 s[8:9]
	s_wait_alu 0xfffe
	s_sext_i32_i16 s9, s9
	s_add_co_u32 s8, s8, .str.9@rel32@lo+12
	s_wait_alu 0xfffe
	s_add_co_ci_u32 s9, s9, .str.9@rel32@hi+24
	s_wait_alu 0xfffe
	s_sub_nc_u64 s[6:7], s[6:7], s[8:9]
	s_wait_alu 0xfffe
	s_add_nc_u64 s[6:7], s[6:7], 1
.LBB5_440:
	s_wait_alu 0xfffe
	s_and_b32 vcc_lo, exec_lo, s3
	s_wait_alu 0xfffe
	s_cbranch_vccz .LBB5_519
; %bb.441:
	s_wait_loadcnt 0x0
	v_dual_mov_b32 v7, 0 :: v_dual_and_b32 v34, 2, v0
	v_dual_mov_b32 v3, v1 :: v_dual_and_b32 v2, -3, v0
	v_dual_mov_b32 v8, 2 :: v_dual_mov_b32 v9, 1
	s_getpc_b64 s[8:9]
	s_wait_alu 0xfffe
	s_sext_i32_i16 s9, s9
	s_add_co_u32 s8, s8, .str.9@rel32@lo+12
	s_wait_alu 0xfffe
	s_add_co_ci_u32 s9, s9, .str.9@rel32@hi+24
	s_branch .LBB5_443
.LBB5_442:                              ;   in Loop: Header=BB5_443 Depth=1
	s_wait_alu 0xfffe
	s_or_b32 exec_lo, exec_lo, s14
	s_sub_nc_u64 s[6:7], s[6:7], s[10:11]
	s_add_nc_u64 s[8:9], s[8:9], s[10:11]
	s_wait_alu 0xfffe
	s_cmp_lg_u64 s[6:7], 0
	s_cbranch_scc0 .LBB5_518
.LBB5_443:                              ; =>This Loop Header: Depth=1
                                        ;     Child Loop BB5_446 Depth 2
                                        ;     Child Loop BB5_453 Depth 2
	;; [unrolled: 1-line block ×11, first 2 shown]
	v_cmp_lt_u64_e64 s3, s[6:7], 56
	v_cmp_gt_u64_e64 s12, s[6:7], 7
	s_and_b32 s3, s3, exec_lo
	s_cselect_b32 s11, s7, 0
	s_cselect_b32 s10, s6, 56
	s_and_b32 vcc_lo, exec_lo, s12
	s_wait_alu 0xfffe
	s_cbranch_vccnz .LBB5_448
; %bb.444:                              ;   in Loop: Header=BB5_443 Depth=1
	v_mov_b32_e32 v4, 0
	v_mov_b32_e32 v5, 0
	s_cmp_eq_u64 s[6:7], 0
	s_cbranch_scc1 .LBB5_447
; %bb.445:                              ;   in Loop: Header=BB5_443 Depth=1
	s_mov_b64 s[12:13], 0
	s_mov_b64 s[14:15], 0
.LBB5_446:                              ;   Parent Loop BB5_443 Depth=1
                                        ; =>  This Inner Loop Header: Depth=2
	s_wait_alu 0xfffe
	s_add_nc_u64 s[16:17], s[8:9], s[14:15]
	s_add_nc_u64 s[14:15], s[14:15], 1
	global_load_u8 v6, v7, s[16:17]
	s_wait_alu 0xfffe
	s_cmp_lg_u32 s10, s14
	s_wait_loadcnt 0x0
	v_and_b32_e32 v6, 0xffff, v6
	s_delay_alu instid0(VALU_DEP_1) | instskip(SKIP_1) | instid1(VALU_DEP_1)
	v_lshlrev_b64_e32 v[10:11], s12, v[6:7]
	s_add_nc_u64 s[12:13], s[12:13], 8
	v_or_b32_e32 v4, v10, v4
	s_delay_alu instid0(VALU_DEP_2)
	v_or_b32_e32 v5, v11, v5
	s_cbranch_scc1 .LBB5_446
.LBB5_447:                              ;   in Loop: Header=BB5_443 Depth=1
	s_mov_b64 s[14:15], s[8:9]
	s_mov_b32 s3, 0
	s_cbranch_execz .LBB5_449
	s_branch .LBB5_450
.LBB5_448:                              ;   in Loop: Header=BB5_443 Depth=1
	s_add_nc_u64 s[14:15], s[8:9], 8
	s_mov_b32 s3, 0
.LBB5_449:                              ;   in Loop: Header=BB5_443 Depth=1
	global_load_b64 v[4:5], v7, s[8:9]
	s_add_co_i32 s3, s10, -8
.LBB5_450:                              ;   in Loop: Header=BB5_443 Depth=1
	s_wait_alu 0xfffe
	s_cmp_gt_u32 s3, 7
	s_cbranch_scc1 .LBB5_455
; %bb.451:                              ;   in Loop: Header=BB5_443 Depth=1
	v_mov_b32_e32 v10, 0
	v_mov_b32_e32 v11, 0
	s_cmp_eq_u32 s3, 0
	s_cbranch_scc1 .LBB5_454
; %bb.452:                              ;   in Loop: Header=BB5_443 Depth=1
	s_mov_b64 s[12:13], 0
	s_mov_b64 s[16:17], 0
.LBB5_453:                              ;   Parent Loop BB5_443 Depth=1
                                        ; =>  This Inner Loop Header: Depth=2
	s_wait_alu 0xfffe
	s_add_nc_u64 s[18:19], s[14:15], s[16:17]
	s_add_nc_u64 s[16:17], s[16:17], 1
	global_load_u8 v6, v7, s[18:19]
	s_wait_alu 0xfffe
	s_cmp_lg_u32 s3, s16
	s_wait_loadcnt 0x0
	v_and_b32_e32 v6, 0xffff, v6
	s_delay_alu instid0(VALU_DEP_1) | instskip(SKIP_1) | instid1(VALU_DEP_1)
	v_lshlrev_b64_e32 v[12:13], s12, v[6:7]
	s_add_nc_u64 s[12:13], s[12:13], 8
	v_or_b32_e32 v10, v12, v10
	s_delay_alu instid0(VALU_DEP_2)
	v_or_b32_e32 v11, v13, v11
	s_cbranch_scc1 .LBB5_453
.LBB5_454:                              ;   in Loop: Header=BB5_443 Depth=1
	s_mov_b64 s[12:13], s[14:15]
	s_mov_b32 s18, 0
	s_cbranch_execz .LBB5_456
	s_branch .LBB5_457
.LBB5_455:                              ;   in Loop: Header=BB5_443 Depth=1
	s_add_nc_u64 s[12:13], s[14:15], 8
                                        ; implicit-def: $vgpr10_vgpr11
	s_mov_b32 s18, 0
.LBB5_456:                              ;   in Loop: Header=BB5_443 Depth=1
	global_load_b64 v[10:11], v7, s[14:15]
	s_add_co_i32 s18, s3, -8
.LBB5_457:                              ;   in Loop: Header=BB5_443 Depth=1
	s_wait_alu 0xfffe
	s_cmp_gt_u32 s18, 7
	s_cbranch_scc1 .LBB5_462
; %bb.458:                              ;   in Loop: Header=BB5_443 Depth=1
	v_mov_b32_e32 v12, 0
	v_mov_b32_e32 v13, 0
	s_cmp_eq_u32 s18, 0
	s_cbranch_scc1 .LBB5_461
; %bb.459:                              ;   in Loop: Header=BB5_443 Depth=1
	s_mov_b64 s[14:15], 0
	s_mov_b64 s[16:17], 0
.LBB5_460:                              ;   Parent Loop BB5_443 Depth=1
                                        ; =>  This Inner Loop Header: Depth=2
	s_wait_alu 0xfffe
	s_add_nc_u64 s[22:23], s[12:13], s[16:17]
	s_add_nc_u64 s[16:17], s[16:17], 1
	global_load_u8 v6, v7, s[22:23]
	s_wait_alu 0xfffe
	s_cmp_lg_u32 s18, s16
	s_wait_loadcnt 0x0
	v_and_b32_e32 v6, 0xffff, v6
	s_delay_alu instid0(VALU_DEP_1) | instskip(SKIP_1) | instid1(VALU_DEP_1)
	v_lshlrev_b64_e32 v[14:15], s14, v[6:7]
	s_add_nc_u64 s[14:15], s[14:15], 8
	v_or_b32_e32 v12, v14, v12
	s_delay_alu instid0(VALU_DEP_2)
	v_or_b32_e32 v13, v15, v13
	s_cbranch_scc1 .LBB5_460
.LBB5_461:                              ;   in Loop: Header=BB5_443 Depth=1
	s_mov_b64 s[14:15], s[12:13]
	s_mov_b32 s3, 0
	s_cbranch_execz .LBB5_463
	s_branch .LBB5_464
.LBB5_462:                              ;   in Loop: Header=BB5_443 Depth=1
	s_add_nc_u64 s[14:15], s[12:13], 8
	s_mov_b32 s3, 0
.LBB5_463:                              ;   in Loop: Header=BB5_443 Depth=1
	global_load_b64 v[12:13], v7, s[12:13]
	s_add_co_i32 s3, s18, -8
.LBB5_464:                              ;   in Loop: Header=BB5_443 Depth=1
	s_wait_alu 0xfffe
	s_cmp_gt_u32 s3, 7
	s_cbranch_scc1 .LBB5_469
; %bb.465:                              ;   in Loop: Header=BB5_443 Depth=1
	v_mov_b32_e32 v14, 0
	v_mov_b32_e32 v15, 0
	s_cmp_eq_u32 s3, 0
	s_cbranch_scc1 .LBB5_468
; %bb.466:                              ;   in Loop: Header=BB5_443 Depth=1
	s_mov_b64 s[12:13], 0
	s_mov_b64 s[16:17], 0
.LBB5_467:                              ;   Parent Loop BB5_443 Depth=1
                                        ; =>  This Inner Loop Header: Depth=2
	s_wait_alu 0xfffe
	s_add_nc_u64 s[18:19], s[14:15], s[16:17]
	s_add_nc_u64 s[16:17], s[16:17], 1
	global_load_u8 v6, v7, s[18:19]
	s_wait_alu 0xfffe
	s_cmp_lg_u32 s3, s16
	s_wait_loadcnt 0x0
	v_and_b32_e32 v6, 0xffff, v6
	s_delay_alu instid0(VALU_DEP_1) | instskip(SKIP_1) | instid1(VALU_DEP_1)
	v_lshlrev_b64_e32 v[16:17], s12, v[6:7]
	s_add_nc_u64 s[12:13], s[12:13], 8
	v_or_b32_e32 v14, v16, v14
	s_delay_alu instid0(VALU_DEP_2)
	v_or_b32_e32 v15, v17, v15
	s_cbranch_scc1 .LBB5_467
.LBB5_468:                              ;   in Loop: Header=BB5_443 Depth=1
	s_mov_b64 s[12:13], s[14:15]
	s_mov_b32 s18, 0
	s_cbranch_execz .LBB5_470
	s_branch .LBB5_471
.LBB5_469:                              ;   in Loop: Header=BB5_443 Depth=1
	s_add_nc_u64 s[12:13], s[14:15], 8
                                        ; implicit-def: $vgpr14_vgpr15
	s_mov_b32 s18, 0
.LBB5_470:                              ;   in Loop: Header=BB5_443 Depth=1
	global_load_b64 v[14:15], v7, s[14:15]
	s_add_co_i32 s18, s3, -8
.LBB5_471:                              ;   in Loop: Header=BB5_443 Depth=1
	s_wait_alu 0xfffe
	s_cmp_gt_u32 s18, 7
	s_cbranch_scc1 .LBB5_476
; %bb.472:                              ;   in Loop: Header=BB5_443 Depth=1
	v_mov_b32_e32 v16, 0
	v_mov_b32_e32 v17, 0
	s_cmp_eq_u32 s18, 0
	s_cbranch_scc1 .LBB5_475
; %bb.473:                              ;   in Loop: Header=BB5_443 Depth=1
	s_mov_b64 s[14:15], 0
	s_mov_b64 s[16:17], 0
.LBB5_474:                              ;   Parent Loop BB5_443 Depth=1
                                        ; =>  This Inner Loop Header: Depth=2
	s_wait_alu 0xfffe
	s_add_nc_u64 s[22:23], s[12:13], s[16:17]
	s_add_nc_u64 s[16:17], s[16:17], 1
	global_load_u8 v6, v7, s[22:23]
	s_wait_alu 0xfffe
	s_cmp_lg_u32 s18, s16
	s_wait_loadcnt 0x0
	v_and_b32_e32 v6, 0xffff, v6
	s_delay_alu instid0(VALU_DEP_1) | instskip(SKIP_1) | instid1(VALU_DEP_1)
	v_lshlrev_b64_e32 v[18:19], s14, v[6:7]
	s_add_nc_u64 s[14:15], s[14:15], 8
	v_or_b32_e32 v16, v18, v16
	s_delay_alu instid0(VALU_DEP_2)
	v_or_b32_e32 v17, v19, v17
	s_cbranch_scc1 .LBB5_474
.LBB5_475:                              ;   in Loop: Header=BB5_443 Depth=1
	s_mov_b64 s[14:15], s[12:13]
	s_mov_b32 s3, 0
	s_cbranch_execz .LBB5_477
	s_branch .LBB5_478
.LBB5_476:                              ;   in Loop: Header=BB5_443 Depth=1
	s_add_nc_u64 s[14:15], s[12:13], 8
	s_mov_b32 s3, 0
.LBB5_477:                              ;   in Loop: Header=BB5_443 Depth=1
	global_load_b64 v[16:17], v7, s[12:13]
	s_add_co_i32 s3, s18, -8
.LBB5_478:                              ;   in Loop: Header=BB5_443 Depth=1
	s_wait_alu 0xfffe
	s_cmp_gt_u32 s3, 7
	s_cbranch_scc1 .LBB5_483
; %bb.479:                              ;   in Loop: Header=BB5_443 Depth=1
	v_mov_b32_e32 v18, 0
	v_mov_b32_e32 v19, 0
	s_cmp_eq_u32 s3, 0
	s_cbranch_scc1 .LBB5_482
; %bb.480:                              ;   in Loop: Header=BB5_443 Depth=1
	s_mov_b64 s[12:13], 0
	s_mov_b64 s[16:17], 0
.LBB5_481:                              ;   Parent Loop BB5_443 Depth=1
                                        ; =>  This Inner Loop Header: Depth=2
	s_wait_alu 0xfffe
	s_add_nc_u64 s[18:19], s[14:15], s[16:17]
	s_add_nc_u64 s[16:17], s[16:17], 1
	global_load_u8 v6, v7, s[18:19]
	s_wait_alu 0xfffe
	s_cmp_lg_u32 s3, s16
	s_wait_loadcnt 0x0
	v_and_b32_e32 v6, 0xffff, v6
	s_delay_alu instid0(VALU_DEP_1) | instskip(SKIP_1) | instid1(VALU_DEP_1)
	v_lshlrev_b64_e32 v[20:21], s12, v[6:7]
	s_add_nc_u64 s[12:13], s[12:13], 8
	v_or_b32_e32 v18, v20, v18
	s_delay_alu instid0(VALU_DEP_2)
	v_or_b32_e32 v19, v21, v19
	s_cbranch_scc1 .LBB5_481
.LBB5_482:                              ;   in Loop: Header=BB5_443 Depth=1
	s_mov_b64 s[12:13], s[14:15]
	s_mov_b32 s18, 0
	s_cbranch_execz .LBB5_484
	s_branch .LBB5_485
.LBB5_483:                              ;   in Loop: Header=BB5_443 Depth=1
	s_add_nc_u64 s[12:13], s[14:15], 8
                                        ; implicit-def: $vgpr18_vgpr19
	s_mov_b32 s18, 0
.LBB5_484:                              ;   in Loop: Header=BB5_443 Depth=1
	global_load_b64 v[18:19], v7, s[14:15]
	s_add_co_i32 s18, s3, -8
.LBB5_485:                              ;   in Loop: Header=BB5_443 Depth=1
	s_wait_alu 0xfffe
	s_cmp_gt_u32 s18, 7
	s_cbranch_scc1 .LBB5_490
; %bb.486:                              ;   in Loop: Header=BB5_443 Depth=1
	v_mov_b32_e32 v20, 0
	v_mov_b32_e32 v21, 0
	s_cmp_eq_u32 s18, 0
	s_cbranch_scc1 .LBB5_489
; %bb.487:                              ;   in Loop: Header=BB5_443 Depth=1
	s_mov_b64 s[14:15], 0
	s_mov_b64 s[16:17], s[12:13]
.LBB5_488:                              ;   Parent Loop BB5_443 Depth=1
                                        ; =>  This Inner Loop Header: Depth=2
	global_load_u8 v6, v7, s[16:17]
	s_add_co_i32 s18, s18, -1
	s_wait_alu 0xfffe
	s_add_nc_u64 s[16:17], s[16:17], 1
	s_cmp_lg_u32 s18, 0
	s_wait_loadcnt 0x0
	v_and_b32_e32 v6, 0xffff, v6
	s_delay_alu instid0(VALU_DEP_1) | instskip(SKIP_1) | instid1(VALU_DEP_1)
	v_lshlrev_b64_e32 v[22:23], s14, v[6:7]
	s_add_nc_u64 s[14:15], s[14:15], 8
	v_or_b32_e32 v20, v22, v20
	s_delay_alu instid0(VALU_DEP_2)
	v_or_b32_e32 v21, v23, v21
	s_cbranch_scc1 .LBB5_488
.LBB5_489:                              ;   in Loop: Header=BB5_443 Depth=1
	s_cbranch_execz .LBB5_491
	s_branch .LBB5_492
.LBB5_490:                              ;   in Loop: Header=BB5_443 Depth=1
.LBB5_491:                              ;   in Loop: Header=BB5_443 Depth=1
	global_load_b64 v[20:21], v7, s[12:13]
.LBB5_492:                              ;   in Loop: Header=BB5_443 Depth=1
	v_readfirstlane_b32 s3, v33
	v_mov_b32_e32 v27, 0
	v_mov_b32_e32 v28, 0
	s_wait_alu 0xf1ff
	s_delay_alu instid0(VALU_DEP_3)
	v_cmp_eq_u32_e64 s3, s3, v33
	s_and_saveexec_b32 s12, s3
	s_cbranch_execz .LBB5_498
; %bb.493:                              ;   in Loop: Header=BB5_443 Depth=1
	global_load_b64 v[24:25], v7, s[4:5] offset:24 scope:SCOPE_SYS
	s_wait_loadcnt 0x0
	global_inv scope:SCOPE_SYS
	s_clause 0x1
	global_load_b64 v[22:23], v7, s[4:5] offset:40
	global_load_b64 v[27:28], v7, s[4:5]
	s_mov_b32 s13, exec_lo
	s_wait_loadcnt 0x1
	v_and_b32_e32 v6, v23, v25
	v_and_b32_e32 v22, v22, v24
	s_delay_alu instid0(VALU_DEP_2) | instskip(NEXT) | instid1(VALU_DEP_2)
	v_mul_lo_u32 v6, 24, v6
	v_mul_lo_u32 v23, 0, v22
	v_mul_hi_u32 v29, 24, v22
	v_mul_lo_u32 v22, 24, v22
	s_delay_alu instid0(VALU_DEP_3) | instskip(SKIP_1) | instid1(VALU_DEP_2)
	v_add_nc_u32_e32 v6, v6, v23
	s_wait_loadcnt 0x0
	v_add_co_u32 v22, vcc_lo, v27, v22
	s_delay_alu instid0(VALU_DEP_2) | instskip(SKIP_1) | instid1(VALU_DEP_1)
	v_add_nc_u32_e32 v6, v6, v29
	s_wait_alu 0xfffd
	v_add_co_ci_u32_e64 v23, null, v28, v6, vcc_lo
	global_load_b64 v[22:23], v[22:23], off scope:SCOPE_SYS
	s_wait_loadcnt 0x0
	global_atomic_cmpswap_b64 v[27:28], v7, v[22:25], s[4:5] offset:24 th:TH_ATOMIC_RETURN scope:SCOPE_SYS
	s_wait_loadcnt 0x0
	global_inv scope:SCOPE_SYS
	v_cmpx_ne_u64_e64 v[27:28], v[24:25]
	s_cbranch_execz .LBB5_497
; %bb.494:                              ;   in Loop: Header=BB5_443 Depth=1
	s_mov_b32 s14, 0
.LBB5_495:                              ;   Parent Loop BB5_443 Depth=1
                                        ; =>  This Inner Loop Header: Depth=2
	s_sleep 1
	s_clause 0x1
	global_load_b64 v[22:23], v7, s[4:5] offset:40
	global_load_b64 v[29:30], v7, s[4:5]
	v_dual_mov_b32 v24, v27 :: v_dual_mov_b32 v25, v28
	s_wait_loadcnt 0x1
	s_delay_alu instid0(VALU_DEP_1) | instskip(NEXT) | instid1(VALU_DEP_2)
	v_and_b32_e32 v6, v22, v24
	v_and_b32_e32 v22, v23, v25
	s_wait_loadcnt 0x0
	s_delay_alu instid0(VALU_DEP_2) | instskip(NEXT) | instid1(VALU_DEP_1)
	v_mad_co_u64_u32 v[27:28], null, v6, 24, v[29:30]
	v_mov_b32_e32 v6, v28
	s_delay_alu instid0(VALU_DEP_1) | instskip(NEXT) | instid1(VALU_DEP_1)
	v_mad_co_u64_u32 v[22:23], null, v22, 24, v[6:7]
	v_mov_b32_e32 v28, v22
	global_load_b64 v[22:23], v[27:28], off scope:SCOPE_SYS
	s_wait_loadcnt 0x0
	global_atomic_cmpswap_b64 v[27:28], v7, v[22:25], s[4:5] offset:24 th:TH_ATOMIC_RETURN scope:SCOPE_SYS
	s_wait_loadcnt 0x0
	global_inv scope:SCOPE_SYS
	v_cmp_eq_u64_e32 vcc_lo, v[27:28], v[24:25]
	s_wait_alu 0xfffe
	s_or_b32 s14, vcc_lo, s14
	s_wait_alu 0xfffe
	s_and_not1_b32 exec_lo, exec_lo, s14
	s_cbranch_execnz .LBB5_495
; %bb.496:                              ;   in Loop: Header=BB5_443 Depth=1
	s_or_b32 exec_lo, exec_lo, s14
.LBB5_497:                              ;   in Loop: Header=BB5_443 Depth=1
	s_wait_alu 0xfffe
	s_or_b32 exec_lo, exec_lo, s13
.LBB5_498:                              ;   in Loop: Header=BB5_443 Depth=1
	s_wait_alu 0xfffe
	s_or_b32 exec_lo, exec_lo, s12
	s_clause 0x1
	global_load_b64 v[29:30], v7, s[4:5] offset:40
	global_load_b128 v[22:25], v7, s[4:5]
	v_readfirstlane_b32 s13, v28
	v_readfirstlane_b32 s12, v27
	s_mov_b32 s14, exec_lo
	s_wait_loadcnt 0x1
	s_wait_alu 0xf1ff
	v_and_b32_e32 v30, s13, v30
	v_and_b32_e32 v29, s12, v29
	s_delay_alu instid0(VALU_DEP_2) | instskip(NEXT) | instid1(VALU_DEP_2)
	v_mul_lo_u32 v6, 24, v30
	v_mul_lo_u32 v27, 0, v29
	v_mul_hi_u32 v28, 24, v29
	v_mul_lo_u32 v35, 24, v29
	s_delay_alu instid0(VALU_DEP_3) | instskip(SKIP_1) | instid1(VALU_DEP_2)
	v_add_nc_u32_e32 v6, v6, v27
	s_wait_loadcnt 0x0
	v_add_co_u32 v27, vcc_lo, v22, v35
	s_delay_alu instid0(VALU_DEP_2) | instskip(SKIP_1) | instid1(VALU_DEP_1)
	v_add_nc_u32_e32 v6, v6, v28
	s_wait_alu 0xfffd
	v_add_co_ci_u32_e64 v28, null, v23, v6, vcc_lo
	s_and_saveexec_b32 s15, s3
	s_cbranch_execz .LBB5_500
; %bb.499:                              ;   in Loop: Header=BB5_443 Depth=1
	s_wait_alu 0xfffe
	v_mov_b32_e32 v6, s14
	global_store_b128 v[27:28], v[6:9], off offset:8
.LBB5_500:                              ;   in Loop: Header=BB5_443 Depth=1
	s_wait_alu 0xfffe
	s_or_b32 exec_lo, exec_lo, s15
	v_cmp_lt_u64_e64 vcc_lo, s[6:7], 57
	v_lshlrev_b64_e32 v[29:30], 12, v[29:30]
	v_and_b32_e32 v2, 0xffffff1f, v2
	s_lshl_b32 s14, s10, 2
	s_wait_alu 0xfffe
	s_add_co_i32 s14, s14, 28
	s_wait_alu 0xfffd
	v_cndmask_b32_e32 v6, 0, v34, vcc_lo
	v_add_co_u32 v24, vcc_lo, v24, v29
	s_wait_alu 0xfffd
	v_add_co_ci_u32_e64 v25, null, v25, v30, vcc_lo
	s_delay_alu instid0(VALU_DEP_3) | instskip(NEXT) | instid1(VALU_DEP_2)
	v_or_b32_e32 v2, v2, v6
	v_readfirstlane_b32 s15, v25
	s_wait_alu 0xfffe
	s_delay_alu instid0(VALU_DEP_2)
	v_and_or_b32 v2, 0x1e0, s14, v2
	v_readfirstlane_b32 s14, v24
	s_clause 0x3
	global_store_b128 v32, v[2:5], s[14:15]
	global_store_b128 v32, v[10:13], s[14:15] offset:16
	global_store_b128 v32, v[14:17], s[14:15] offset:32
	;; [unrolled: 1-line block ×3, first 2 shown]
	s_and_saveexec_b32 s14, s3
	s_cbranch_execz .LBB5_508
; %bb.501:                              ;   in Loop: Header=BB5_443 Depth=1
	s_clause 0x1
	global_load_b64 v[14:15], v7, s[4:5] offset:32 scope:SCOPE_SYS
	global_load_b64 v[2:3], v7, s[4:5] offset:40
	s_mov_b32 s15, exec_lo
	v_dual_mov_b32 v12, s12 :: v_dual_mov_b32 v13, s13
	s_wait_loadcnt 0x0
	v_and_b32_e32 v2, s12, v2
	v_and_b32_e32 v3, s13, v3
	s_delay_alu instid0(VALU_DEP_2) | instskip(NEXT) | instid1(VALU_DEP_2)
	v_mul_lo_u32 v4, 0, v2
	v_mul_lo_u32 v3, 24, v3
	v_mul_hi_u32 v5, 24, v2
	v_mul_lo_u32 v2, 24, v2
	s_delay_alu instid0(VALU_DEP_3) | instskip(NEXT) | instid1(VALU_DEP_2)
	v_add_nc_u32_e32 v3, v3, v4
	v_add_co_u32 v10, vcc_lo, v22, v2
	s_delay_alu instid0(VALU_DEP_2) | instskip(SKIP_1) | instid1(VALU_DEP_1)
	v_add_nc_u32_e32 v3, v3, v5
	s_wait_alu 0xfffd
	v_add_co_ci_u32_e64 v11, null, v23, v3, vcc_lo
	global_store_b64 v[10:11], v[14:15], off
	global_wb scope:SCOPE_SYS
	s_wait_storecnt 0x0
	global_atomic_cmpswap_b64 v[4:5], v7, v[12:15], s[4:5] offset:32 th:TH_ATOMIC_RETURN scope:SCOPE_SYS
	s_wait_loadcnt 0x0
	v_cmpx_ne_u64_e64 v[4:5], v[14:15]
	s_cbranch_execz .LBB5_504
; %bb.502:                              ;   in Loop: Header=BB5_443 Depth=1
	s_mov_b32 s16, 0
.LBB5_503:                              ;   Parent Loop BB5_443 Depth=1
                                        ; =>  This Inner Loop Header: Depth=2
	v_dual_mov_b32 v2, s12 :: v_dual_mov_b32 v3, s13
	s_sleep 1
	global_store_b64 v[10:11], v[4:5], off
	global_wb scope:SCOPE_SYS
	s_wait_storecnt 0x0
	global_atomic_cmpswap_b64 v[2:3], v7, v[2:5], s[4:5] offset:32 th:TH_ATOMIC_RETURN scope:SCOPE_SYS
	s_wait_loadcnt 0x0
	v_cmp_eq_u64_e32 vcc_lo, v[2:3], v[4:5]
	v_dual_mov_b32 v5, v3 :: v_dual_mov_b32 v4, v2
	s_wait_alu 0xfffe
	s_or_b32 s16, vcc_lo, s16
	s_wait_alu 0xfffe
	s_and_not1_b32 exec_lo, exec_lo, s16
	s_cbranch_execnz .LBB5_503
.LBB5_504:                              ;   in Loop: Header=BB5_443 Depth=1
	s_wait_alu 0xfffe
	s_or_b32 exec_lo, exec_lo, s15
	global_load_b64 v[2:3], v7, s[4:5] offset:16
	s_mov_b32 s16, exec_lo
	s_mov_b32 s15, exec_lo
	s_wait_alu 0xfffe
	v_mbcnt_lo_u32_b32 v4, s16, 0
	s_delay_alu instid0(VALU_DEP_1)
	v_cmpx_eq_u32_e32 0, v4
	s_cbranch_execz .LBB5_506
; %bb.505:                              ;   in Loop: Header=BB5_443 Depth=1
	s_bcnt1_i32_b32 s16, s16
	s_wait_alu 0xfffe
	v_mov_b32_e32 v6, s16
	global_wb scope:SCOPE_SYS
	s_wait_loadcnt 0x0
	s_wait_storecnt 0x0
	global_atomic_add_u64 v[2:3], v[6:7], off offset:8 scope:SCOPE_SYS
.LBB5_506:                              ;   in Loop: Header=BB5_443 Depth=1
	s_or_b32 exec_lo, exec_lo, s15
	s_wait_loadcnt 0x0
	global_load_b64 v[4:5], v[2:3], off offset:16
	s_wait_loadcnt 0x0
	v_cmp_eq_u64_e32 vcc_lo, 0, v[4:5]
	s_cbranch_vccnz .LBB5_508
; %bb.507:                              ;   in Loop: Header=BB5_443 Depth=1
	global_load_b32 v6, v[2:3], off offset:24
	s_wait_loadcnt 0x0
	v_readfirstlane_b32 s15, v6
	global_wb scope:SCOPE_SYS
	s_wait_storecnt 0x0
	global_store_b64 v[4:5], v[6:7], off scope:SCOPE_SYS
	s_and_b32 m0, s15, 0xffffff
	s_sendmsg sendmsg(MSG_INTERRUPT)
.LBB5_508:                              ;   in Loop: Header=BB5_443 Depth=1
	s_wait_alu 0xfffe
	s_or_b32 exec_lo, exec_lo, s14
	v_add_co_u32 v2, vcc_lo, v24, v32
	s_wait_alu 0xfffd
	v_add_co_ci_u32_e64 v3, null, 0, v25, vcc_lo
	s_branch .LBB5_512
.LBB5_509:                              ;   in Loop: Header=BB5_512 Depth=2
	s_wait_alu 0xfffe
	s_or_b32 exec_lo, exec_lo, s14
	s_delay_alu instid0(VALU_DEP_1)
	v_readfirstlane_b32 s14, v4
	s_cmp_eq_u32 s14, 0
	s_cbranch_scc1 .LBB5_511
; %bb.510:                              ;   in Loop: Header=BB5_512 Depth=2
	s_sleep 1
	s_cbranch_execnz .LBB5_512
	s_branch .LBB5_514
.LBB5_511:                              ;   in Loop: Header=BB5_443 Depth=1
	s_branch .LBB5_514
.LBB5_512:                              ;   Parent Loop BB5_443 Depth=1
                                        ; =>  This Inner Loop Header: Depth=2
	v_mov_b32_e32 v4, 1
	s_and_saveexec_b32 s14, s3
	s_cbranch_execz .LBB5_509
; %bb.513:                              ;   in Loop: Header=BB5_512 Depth=2
	global_load_b32 v4, v[27:28], off offset:20 scope:SCOPE_SYS
	s_wait_loadcnt 0x0
	global_inv scope:SCOPE_SYS
	v_and_b32_e32 v4, 1, v4
	s_branch .LBB5_509
.LBB5_514:                              ;   in Loop: Header=BB5_443 Depth=1
	global_load_b64 v[2:3], v[2:3], off
	s_and_saveexec_b32 s14, s3
	s_cbranch_execz .LBB5_442
; %bb.515:                              ;   in Loop: Header=BB5_443 Depth=1
	s_clause 0x2
	global_load_b64 v[4:5], v7, s[4:5] offset:40
	global_load_b64 v[14:15], v7, s[4:5] offset:24 scope:SCOPE_SYS
	global_load_b64 v[10:11], v7, s[4:5]
	s_wait_loadcnt 0x2
	v_readfirstlane_b32 s16, v4
	v_readfirstlane_b32 s17, v5
	s_add_nc_u64 s[18:19], s[16:17], 1
	s_wait_alu 0xfffe
	s_add_nc_u64 s[12:13], s[18:19], s[12:13]
	s_wait_alu 0xfffe
	s_cmp_eq_u64 s[12:13], 0
	s_cselect_b32 s13, s19, s13
	s_cselect_b32 s12, s18, s12
	s_wait_alu 0xfffe
	v_dual_mov_b32 v13, s13 :: v_dual_mov_b32 v12, s12
	s_and_b64 s[16:17], s[12:13], s[16:17]
	s_wait_alu 0xfffe
	s_mul_u64 s[16:17], s[16:17], 24
	s_wait_loadcnt 0x0
	s_wait_alu 0xfffe
	v_add_co_u32 v4, vcc_lo, v10, s16
	s_wait_alu 0xfffd
	v_add_co_ci_u32_e64 v5, null, s17, v11, vcc_lo
	global_store_b64 v[4:5], v[14:15], off
	global_wb scope:SCOPE_SYS
	s_wait_storecnt 0x0
	global_atomic_cmpswap_b64 v[12:13], v7, v[12:15], s[4:5] offset:24 th:TH_ATOMIC_RETURN scope:SCOPE_SYS
	s_wait_loadcnt 0x0
	v_cmp_ne_u64_e32 vcc_lo, v[12:13], v[14:15]
	s_and_b32 exec_lo, exec_lo, vcc_lo
	s_cbranch_execz .LBB5_442
; %bb.516:                              ;   in Loop: Header=BB5_443 Depth=1
	s_mov_b32 s3, 0
.LBB5_517:                              ;   Parent Loop BB5_443 Depth=1
                                        ; =>  This Inner Loop Header: Depth=2
	v_dual_mov_b32 v10, s12 :: v_dual_mov_b32 v11, s13
	s_sleep 1
	global_store_b64 v[4:5], v[12:13], off
	global_wb scope:SCOPE_SYS
	s_wait_storecnt 0x0
	global_atomic_cmpswap_b64 v[10:11], v7, v[10:13], s[4:5] offset:24 th:TH_ATOMIC_RETURN scope:SCOPE_SYS
	s_wait_loadcnt 0x0
	v_cmp_eq_u64_e32 vcc_lo, v[10:11], v[12:13]
	v_dual_mov_b32 v13, v11 :: v_dual_mov_b32 v12, v10
	s_wait_alu 0xfffe
	s_or_b32 s3, vcc_lo, s3
	s_wait_alu 0xfffe
	s_and_not1_b32 exec_lo, exec_lo, s3
	s_cbranch_execnz .LBB5_517
	s_branch .LBB5_442
.LBB5_518:
	s_branch .LBB5_547
.LBB5_519:
                                        ; implicit-def: $vgpr2_vgpr3
	s_cbranch_execz .LBB5_547
; %bb.520:
	v_readfirstlane_b32 s3, v33
	v_mov_b32_e32 v8, 0
	v_mov_b32_e32 v9, 0
	s_wait_alu 0xf1ff
	s_delay_alu instid0(VALU_DEP_3)
	v_cmp_eq_u32_e64 s3, s3, v33
	s_and_saveexec_b32 s6, s3
	s_cbranch_execz .LBB5_526
; %bb.521:
	s_wait_loadcnt 0x0
	v_mov_b32_e32 v2, 0
	s_mov_b32 s7, exec_lo
	global_load_b64 v[5:6], v2, s[4:5] offset:24 scope:SCOPE_SYS
	s_wait_loadcnt 0x0
	global_inv scope:SCOPE_SYS
	s_clause 0x1
	global_load_b64 v[3:4], v2, s[4:5] offset:40
	global_load_b64 v[7:8], v2, s[4:5]
	s_wait_loadcnt 0x1
	v_and_b32_e32 v4, v4, v6
	v_and_b32_e32 v3, v3, v5
	s_delay_alu instid0(VALU_DEP_2) | instskip(NEXT) | instid1(VALU_DEP_2)
	v_mul_lo_u32 v4, 24, v4
	v_mul_lo_u32 v9, 0, v3
	v_mul_hi_u32 v10, 24, v3
	v_mul_lo_u32 v3, 24, v3
	s_delay_alu instid0(VALU_DEP_3) | instskip(SKIP_1) | instid1(VALU_DEP_2)
	v_add_nc_u32_e32 v4, v4, v9
	s_wait_loadcnt 0x0
	v_add_co_u32 v3, vcc_lo, v7, v3
	s_delay_alu instid0(VALU_DEP_2) | instskip(SKIP_1) | instid1(VALU_DEP_1)
	v_add_nc_u32_e32 v4, v4, v10
	s_wait_alu 0xfffd
	v_add_co_ci_u32_e64 v4, null, v8, v4, vcc_lo
	global_load_b64 v[3:4], v[3:4], off scope:SCOPE_SYS
	s_wait_loadcnt 0x0
	global_atomic_cmpswap_b64 v[8:9], v2, v[3:6], s[4:5] offset:24 th:TH_ATOMIC_RETURN scope:SCOPE_SYS
	s_wait_loadcnt 0x0
	global_inv scope:SCOPE_SYS
	v_cmpx_ne_u64_e64 v[8:9], v[5:6]
	s_cbranch_execz .LBB5_525
; %bb.522:
	s_mov_b32 s8, 0
.LBB5_523:                              ; =>This Inner Loop Header: Depth=1
	s_sleep 1
	s_clause 0x1
	global_load_b64 v[3:4], v2, s[4:5] offset:40
	global_load_b64 v[10:11], v2, s[4:5]
	v_dual_mov_b32 v5, v8 :: v_dual_mov_b32 v6, v9
	s_wait_loadcnt 0x1
	s_delay_alu instid0(VALU_DEP_1) | instskip(NEXT) | instid1(VALU_DEP_2)
	v_and_b32_e32 v3, v3, v5
	v_and_b32_e32 v4, v4, v6
	s_wait_loadcnt 0x0
	s_delay_alu instid0(VALU_DEP_2) | instskip(NEXT) | instid1(VALU_DEP_1)
	v_mad_co_u64_u32 v[7:8], null, v3, 24, v[10:11]
	v_mov_b32_e32 v3, v8
	s_delay_alu instid0(VALU_DEP_1) | instskip(NEXT) | instid1(VALU_DEP_1)
	v_mad_co_u64_u32 v[3:4], null, v4, 24, v[3:4]
	v_mov_b32_e32 v8, v3
	global_load_b64 v[3:4], v[7:8], off scope:SCOPE_SYS
	s_wait_loadcnt 0x0
	global_atomic_cmpswap_b64 v[8:9], v2, v[3:6], s[4:5] offset:24 th:TH_ATOMIC_RETURN scope:SCOPE_SYS
	s_wait_loadcnt 0x0
	global_inv scope:SCOPE_SYS
	v_cmp_eq_u64_e32 vcc_lo, v[8:9], v[5:6]
	s_wait_alu 0xfffe
	s_or_b32 s8, vcc_lo, s8
	s_wait_alu 0xfffe
	s_and_not1_b32 exec_lo, exec_lo, s8
	s_cbranch_execnz .LBB5_523
; %bb.524:
	s_or_b32 exec_lo, exec_lo, s8
.LBB5_525:
	s_wait_alu 0xfffe
	s_or_b32 exec_lo, exec_lo, s7
.LBB5_526:
	s_wait_alu 0xfffe
	s_or_b32 exec_lo, exec_lo, s6
	v_readfirstlane_b32 s7, v9
	s_wait_loadcnt 0x0
	v_mov_b32_e32 v2, 0
	v_readfirstlane_b32 s6, v8
	s_mov_b32 s8, exec_lo
	s_clause 0x1
	global_load_b64 v[10:11], v2, s[4:5] offset:40
	global_load_b128 v[4:7], v2, s[4:5]
	s_wait_loadcnt 0x1
	s_wait_alu 0xf1ff
	v_and_b32_e32 v11, s7, v11
	v_and_b32_e32 v10, s6, v10
	s_delay_alu instid0(VALU_DEP_2) | instskip(NEXT) | instid1(VALU_DEP_2)
	v_mul_lo_u32 v3, 24, v11
	v_mul_lo_u32 v8, 0, v10
	v_mul_hi_u32 v9, 24, v10
	v_mul_lo_u32 v12, 24, v10
	s_delay_alu instid0(VALU_DEP_3) | instskip(SKIP_1) | instid1(VALU_DEP_2)
	v_add_nc_u32_e32 v3, v3, v8
	s_wait_loadcnt 0x0
	v_add_co_u32 v8, vcc_lo, v4, v12
	s_delay_alu instid0(VALU_DEP_2) | instskip(SKIP_1) | instid1(VALU_DEP_1)
	v_add_nc_u32_e32 v3, v3, v9
	s_wait_alu 0xfffd
	v_add_co_ci_u32_e64 v9, null, v5, v3, vcc_lo
	s_and_saveexec_b32 s9, s3
	s_cbranch_execz .LBB5_528
; %bb.527:
	s_wait_alu 0xfffe
	v_dual_mov_b32 v12, s8 :: v_dual_mov_b32 v13, v2
	v_dual_mov_b32 v14, 2 :: v_dual_mov_b32 v15, 1
	global_store_b128 v[8:9], v[12:15], off offset:8
.LBB5_528:
	s_wait_alu 0xfffe
	s_or_b32 exec_lo, exec_lo, s9
	v_lshlrev_b64_e32 v[10:11], 12, v[10:11]
	s_mov_b32 s8, 0
	v_and_or_b32 v0, 0xffffff1f, v0, 32
	s_wait_alu 0xfffe
	s_mov_b32 s11, s8
	s_mov_b32 s9, s8
	;; [unrolled: 1-line block ×3, first 2 shown]
	v_add_co_u32 v6, vcc_lo, v6, v10
	s_wait_alu 0xfffd
	v_add_co_ci_u32_e64 v7, null, v7, v11, vcc_lo
	v_mov_b32_e32 v3, v2
	s_delay_alu instid0(VALU_DEP_3) | instskip(SKIP_1) | instid1(VALU_DEP_4)
	v_readfirstlane_b32 s12, v6
	v_add_co_u32 v6, vcc_lo, v6, v32
	v_readfirstlane_b32 s13, v7
	s_wait_alu 0xfffe
	v_dual_mov_b32 v13, s11 :: v_dual_mov_b32 v10, s8
	s_wait_alu 0xfffd
	v_add_co_ci_u32_e64 v7, null, 0, v7, vcc_lo
	v_dual_mov_b32 v12, s10 :: v_dual_mov_b32 v11, s9
	s_clause 0x3
	global_store_b128 v32, v[0:3], s[12:13]
	global_store_b128 v32, v[10:13], s[12:13] offset:16
	global_store_b128 v32, v[10:13], s[12:13] offset:32
	;; [unrolled: 1-line block ×3, first 2 shown]
	s_and_saveexec_b32 s8, s3
	s_cbranch_execz .LBB5_536
; %bb.529:
	v_mov_b32_e32 v10, 0
	s_mov_b32 s9, exec_lo
	s_clause 0x1
	global_load_b64 v[13:14], v10, s[4:5] offset:32 scope:SCOPE_SYS
	global_load_b64 v[0:1], v10, s[4:5] offset:40
	v_dual_mov_b32 v11, s6 :: v_dual_mov_b32 v12, s7
	s_wait_loadcnt 0x0
	v_and_b32_e32 v1, s7, v1
	v_and_b32_e32 v0, s6, v0
	s_delay_alu instid0(VALU_DEP_2) | instskip(NEXT) | instid1(VALU_DEP_2)
	v_mul_lo_u32 v1, 24, v1
	v_mul_lo_u32 v2, 0, v0
	v_mul_hi_u32 v3, 24, v0
	v_mul_lo_u32 v0, 24, v0
	s_delay_alu instid0(VALU_DEP_3) | instskip(NEXT) | instid1(VALU_DEP_2)
	v_add_nc_u32_e32 v1, v1, v2
	v_add_co_u32 v4, vcc_lo, v4, v0
	s_delay_alu instid0(VALU_DEP_2) | instskip(SKIP_1) | instid1(VALU_DEP_1)
	v_add_nc_u32_e32 v1, v1, v3
	s_wait_alu 0xfffd
	v_add_co_ci_u32_e64 v5, null, v5, v1, vcc_lo
	global_store_b64 v[4:5], v[13:14], off
	global_wb scope:SCOPE_SYS
	s_wait_storecnt 0x0
	global_atomic_cmpswap_b64 v[2:3], v10, v[11:14], s[4:5] offset:32 th:TH_ATOMIC_RETURN scope:SCOPE_SYS
	s_wait_loadcnt 0x0
	v_cmpx_ne_u64_e64 v[2:3], v[13:14]
	s_cbranch_execz .LBB5_532
; %bb.530:
	s_mov_b32 s10, 0
.LBB5_531:                              ; =>This Inner Loop Header: Depth=1
	v_dual_mov_b32 v0, s6 :: v_dual_mov_b32 v1, s7
	s_sleep 1
	global_store_b64 v[4:5], v[2:3], off
	global_wb scope:SCOPE_SYS
	s_wait_storecnt 0x0
	global_atomic_cmpswap_b64 v[0:1], v10, v[0:3], s[4:5] offset:32 th:TH_ATOMIC_RETURN scope:SCOPE_SYS
	s_wait_loadcnt 0x0
	v_cmp_eq_u64_e32 vcc_lo, v[0:1], v[2:3]
	v_dual_mov_b32 v3, v1 :: v_dual_mov_b32 v2, v0
	s_wait_alu 0xfffe
	s_or_b32 s10, vcc_lo, s10
	s_wait_alu 0xfffe
	s_and_not1_b32 exec_lo, exec_lo, s10
	s_cbranch_execnz .LBB5_531
.LBB5_532:
	s_wait_alu 0xfffe
	s_or_b32 exec_lo, exec_lo, s9
	v_mov_b32_e32 v3, 0
	s_mov_b32 s10, exec_lo
	s_mov_b32 s9, exec_lo
	s_wait_alu 0xfffe
	v_mbcnt_lo_u32_b32 v2, s10, 0
	global_load_b64 v[0:1], v3, s[4:5] offset:16
	v_cmpx_eq_u32_e32 0, v2
	s_cbranch_execz .LBB5_534
; %bb.533:
	s_bcnt1_i32_b32 s10, s10
	s_wait_alu 0xfffe
	v_mov_b32_e32 v2, s10
	global_wb scope:SCOPE_SYS
	s_wait_loadcnt 0x0
	s_wait_storecnt 0x0
	global_atomic_add_u64 v[0:1], v[2:3], off offset:8 scope:SCOPE_SYS
.LBB5_534:
	s_or_b32 exec_lo, exec_lo, s9
	s_wait_loadcnt 0x0
	global_load_b64 v[2:3], v[0:1], off offset:16
	s_wait_loadcnt 0x0
	v_cmp_eq_u64_e32 vcc_lo, 0, v[2:3]
	s_cbranch_vccnz .LBB5_536
; %bb.535:
	global_load_b32 v0, v[0:1], off offset:24
	v_mov_b32_e32 v1, 0
	s_wait_loadcnt 0x0
	v_readfirstlane_b32 s9, v0
	global_wb scope:SCOPE_SYS
	s_wait_storecnt 0x0
	global_store_b64 v[2:3], v[0:1], off scope:SCOPE_SYS
	s_and_b32 m0, s9, 0xffffff
	s_sendmsg sendmsg(MSG_INTERRUPT)
.LBB5_536:
	s_wait_alu 0xfffe
	s_or_b32 exec_lo, exec_lo, s8
	s_branch .LBB5_540
.LBB5_537:                              ;   in Loop: Header=BB5_540 Depth=1
	s_wait_alu 0xfffe
	s_or_b32 exec_lo, exec_lo, s8
	s_delay_alu instid0(VALU_DEP_1)
	v_readfirstlane_b32 s8, v0
	s_cmp_eq_u32 s8, 0
	s_cbranch_scc1 .LBB5_539
; %bb.538:                              ;   in Loop: Header=BB5_540 Depth=1
	s_sleep 1
	s_cbranch_execnz .LBB5_540
	s_branch .LBB5_542
.LBB5_539:
	s_branch .LBB5_542
.LBB5_540:                              ; =>This Inner Loop Header: Depth=1
	v_mov_b32_e32 v0, 1
	s_and_saveexec_b32 s8, s3
	s_cbranch_execz .LBB5_537
; %bb.541:                              ;   in Loop: Header=BB5_540 Depth=1
	global_load_b32 v0, v[8:9], off offset:20 scope:SCOPE_SYS
	s_wait_loadcnt 0x0
	global_inv scope:SCOPE_SYS
	v_and_b32_e32 v0, 1, v0
	s_branch .LBB5_537
.LBB5_542:
	global_load_b64 v[2:3], v[6:7], off
	s_and_saveexec_b32 s8, s3
	s_cbranch_execz .LBB5_546
; %bb.543:
	v_mov_b32_e32 v8, 0
	s_clause 0x2
	global_load_b64 v[0:1], v8, s[4:5] offset:40
	global_load_b64 v[11:12], v8, s[4:5] offset:24 scope:SCOPE_SYS
	global_load_b64 v[4:5], v8, s[4:5]
	s_wait_loadcnt 0x2
	v_readfirstlane_b32 s10, v0
	v_readfirstlane_b32 s11, v1
	s_add_nc_u64 s[12:13], s[10:11], 1
	s_wait_alu 0xfffe
	s_add_nc_u64 s[6:7], s[12:13], s[6:7]
	s_wait_alu 0xfffe
	s_cmp_eq_u64 s[6:7], 0
	s_cselect_b32 s7, s13, s7
	s_cselect_b32 s6, s12, s6
	s_wait_alu 0xfffe
	v_mov_b32_e32 v10, s7
	s_and_b64 s[10:11], s[6:7], s[10:11]
	v_mov_b32_e32 v9, s6
	s_wait_alu 0xfffe
	s_mul_u64 s[10:11], s[10:11], 24
	s_wait_loadcnt 0x0
	s_wait_alu 0xfffe
	v_add_co_u32 v0, vcc_lo, v4, s10
	s_wait_alu 0xfffd
	v_add_co_ci_u32_e64 v1, null, s11, v5, vcc_lo
	global_store_b64 v[0:1], v[11:12], off
	global_wb scope:SCOPE_SYS
	s_wait_storecnt 0x0
	global_atomic_cmpswap_b64 v[6:7], v8, v[9:12], s[4:5] offset:24 th:TH_ATOMIC_RETURN scope:SCOPE_SYS
	s_wait_loadcnt 0x0
	v_cmp_ne_u64_e32 vcc_lo, v[6:7], v[11:12]
	s_and_b32 exec_lo, exec_lo, vcc_lo
	s_cbranch_execz .LBB5_546
; %bb.544:
	s_mov_b32 s3, 0
.LBB5_545:                              ; =>This Inner Loop Header: Depth=1
	v_dual_mov_b32 v4, s6 :: v_dual_mov_b32 v5, s7
	s_sleep 1
	global_store_b64 v[0:1], v[6:7], off
	global_wb scope:SCOPE_SYS
	s_wait_storecnt 0x0
	global_atomic_cmpswap_b64 v[4:5], v8, v[4:7], s[4:5] offset:24 th:TH_ATOMIC_RETURN scope:SCOPE_SYS
	s_wait_loadcnt 0x0
	v_cmp_eq_u64_e32 vcc_lo, v[4:5], v[6:7]
	v_dual_mov_b32 v7, v5 :: v_dual_mov_b32 v6, v4
	s_wait_alu 0xfffe
	s_or_b32 s3, vcc_lo, s3
	s_wait_alu 0xfffe
	s_and_not1_b32 exec_lo, exec_lo, s3
	s_cbranch_execnz .LBB5_545
.LBB5_546:
	s_wait_alu 0xfffe
	s_or_b32 exec_lo, exec_lo, s8
.LBB5_547:
	v_readfirstlane_b32 s3, v33
	s_wait_loadcnt 0x0
	v_mov_b32_e32 v0, 0
	v_mov_b32_e32 v1, 0
	s_wait_alu 0xf1ff
	v_cmp_eq_u32_e64 s3, s3, v33
	s_and_saveexec_b32 s6, s3
	s_cbranch_execz .LBB5_553
; %bb.548:
	v_mov_b32_e32 v4, 0
	s_mov_b32 s7, exec_lo
	global_load_b64 v[7:8], v4, s[4:5] offset:24 scope:SCOPE_SYS
	s_wait_loadcnt 0x0
	global_inv scope:SCOPE_SYS
	s_clause 0x1
	global_load_b64 v[0:1], v4, s[4:5] offset:40
	global_load_b64 v[5:6], v4, s[4:5]
	s_wait_loadcnt 0x1
	v_and_b32_e32 v1, v1, v8
	v_and_b32_e32 v0, v0, v7
	s_delay_alu instid0(VALU_DEP_2) | instskip(NEXT) | instid1(VALU_DEP_2)
	v_mul_lo_u32 v1, 24, v1
	v_mul_lo_u32 v9, 0, v0
	v_mul_hi_u32 v10, 24, v0
	v_mul_lo_u32 v0, 24, v0
	s_delay_alu instid0(VALU_DEP_3) | instskip(SKIP_1) | instid1(VALU_DEP_2)
	v_add_nc_u32_e32 v1, v1, v9
	s_wait_loadcnt 0x0
	v_add_co_u32 v0, vcc_lo, v5, v0
	s_delay_alu instid0(VALU_DEP_2) | instskip(SKIP_1) | instid1(VALU_DEP_1)
	v_add_nc_u32_e32 v1, v1, v10
	s_wait_alu 0xfffd
	v_add_co_ci_u32_e64 v1, null, v6, v1, vcc_lo
	global_load_b64 v[5:6], v[0:1], off scope:SCOPE_SYS
	s_wait_loadcnt 0x0
	global_atomic_cmpswap_b64 v[0:1], v4, v[5:8], s[4:5] offset:24 th:TH_ATOMIC_RETURN scope:SCOPE_SYS
	s_wait_loadcnt 0x0
	global_inv scope:SCOPE_SYS
	v_cmpx_ne_u64_e64 v[0:1], v[7:8]
	s_cbranch_execz .LBB5_552
; %bb.549:
	s_mov_b32 s8, 0
.LBB5_550:                              ; =>This Inner Loop Header: Depth=1
	s_sleep 1
	s_clause 0x1
	global_load_b64 v[5:6], v4, s[4:5] offset:40
	global_load_b64 v[9:10], v4, s[4:5]
	v_dual_mov_b32 v8, v1 :: v_dual_mov_b32 v7, v0
	s_wait_loadcnt 0x1
	s_delay_alu instid0(VALU_DEP_1) | instskip(NEXT) | instid1(VALU_DEP_2)
	v_and_b32_e32 v0, v5, v7
	v_and_b32_e32 v5, v6, v8
	s_wait_loadcnt 0x0
	s_delay_alu instid0(VALU_DEP_2) | instskip(NEXT) | instid1(VALU_DEP_1)
	v_mad_co_u64_u32 v[0:1], null, v0, 24, v[9:10]
	v_mad_co_u64_u32 v[5:6], null, v5, 24, v[1:2]
	s_delay_alu instid0(VALU_DEP_1)
	v_mov_b32_e32 v1, v5
	global_load_b64 v[5:6], v[0:1], off scope:SCOPE_SYS
	s_wait_loadcnt 0x0
	global_atomic_cmpswap_b64 v[0:1], v4, v[5:8], s[4:5] offset:24 th:TH_ATOMIC_RETURN scope:SCOPE_SYS
	s_wait_loadcnt 0x0
	global_inv scope:SCOPE_SYS
	v_cmp_eq_u64_e32 vcc_lo, v[0:1], v[7:8]
	s_wait_alu 0xfffe
	s_or_b32 s8, vcc_lo, s8
	s_wait_alu 0xfffe
	s_and_not1_b32 exec_lo, exec_lo, s8
	s_cbranch_execnz .LBB5_550
; %bb.551:
	s_or_b32 exec_lo, exec_lo, s8
.LBB5_552:
	s_wait_alu 0xfffe
	s_or_b32 exec_lo, exec_lo, s7
.LBB5_553:
	s_wait_alu 0xfffe
	s_or_b32 exec_lo, exec_lo, s6
	v_readfirstlane_b32 s6, v0
	v_mov_b32_e32 v5, 0
	v_readfirstlane_b32 s7, v1
	s_mov_b32 s8, exec_lo
	s_clause 0x1
	global_load_b64 v[10:11], v5, s[4:5] offset:40
	global_load_b128 v[6:9], v5, s[4:5]
	s_wait_loadcnt 0x1
	s_wait_alu 0xf1ff
	v_and_b32_e32 v1, s7, v11
	v_and_b32_e32 v0, s6, v10
	s_delay_alu instid0(VALU_DEP_2) | instskip(NEXT) | instid1(VALU_DEP_2)
	v_mul_lo_u32 v4, 24, v1
	v_mul_lo_u32 v10, 0, v0
	v_mul_hi_u32 v11, 24, v0
	v_mul_lo_u32 v12, 24, v0
	s_delay_alu instid0(VALU_DEP_3) | instskip(SKIP_1) | instid1(VALU_DEP_2)
	v_add_nc_u32_e32 v4, v4, v10
	s_wait_loadcnt 0x0
	v_add_co_u32 v10, vcc_lo, v6, v12
	s_delay_alu instid0(VALU_DEP_2) | instskip(SKIP_1) | instid1(VALU_DEP_1)
	v_add_nc_u32_e32 v4, v4, v11
	s_wait_alu 0xfffd
	v_add_co_ci_u32_e64 v11, null, v7, v4, vcc_lo
	s_and_saveexec_b32 s9, s3
	s_cbranch_execz .LBB5_555
; %bb.554:
	s_wait_alu 0xfffe
	v_dual_mov_b32 v4, s8 :: v_dual_mov_b32 v15, 1
	v_dual_mov_b32 v14, 2 :: v_dual_mov_b32 v13, v5
	s_delay_alu instid0(VALU_DEP_2)
	v_mov_b32_e32 v12, v4
	global_store_b128 v[10:11], v[12:15], off offset:8
.LBB5_555:
	s_wait_alu 0xfffe
	s_or_b32 exec_lo, exec_lo, s9
	v_lshlrev_b64_e32 v[0:1], 12, v[0:1]
	s_mov_b32 s8, 0
	v_and_or_b32 v2, 0xffffff1f, v2, 32
	s_wait_alu 0xfffe
	s_mov_b32 s11, s8
	s_mov_b32 s9, s8
	;; [unrolled: 1-line block ×3, first 2 shown]
	v_add_co_u32 v0, vcc_lo, v8, v0
	s_wait_alu 0xfffd
	v_add_co_ci_u32_e64 v1, null, v9, v1, vcc_lo
	s_wait_alu 0xfffe
	v_dual_mov_b32 v4, 15 :: v_dual_mov_b32 v15, s11
	v_add_co_u32 v8, vcc_lo, v0, v32
	v_readfirstlane_b32 s12, v0
	v_readfirstlane_b32 s13, v1
	s_wait_alu 0xfffd
	v_add_co_ci_u32_e64 v9, null, 0, v1, vcc_lo
	v_dual_mov_b32 v14, s10 :: v_dual_mov_b32 v13, s9
	v_mov_b32_e32 v12, s8
	s_clause 0x3
	global_store_b128 v32, v[2:5], s[12:13]
	global_store_b128 v32, v[12:15], s[12:13] offset:16
	global_store_b128 v32, v[12:15], s[12:13] offset:32
	;; [unrolled: 1-line block ×3, first 2 shown]
	s_and_saveexec_b32 s8, s3
	s_cbranch_execz .LBB5_563
; %bb.556:
	v_mov_b32_e32 v12, 0
	s_mov_b32 s9, exec_lo
	s_clause 0x1
	global_load_b64 v[15:16], v12, s[4:5] offset:32 scope:SCOPE_SYS
	global_load_b64 v[0:1], v12, s[4:5] offset:40
	v_dual_mov_b32 v13, s6 :: v_dual_mov_b32 v14, s7
	s_wait_loadcnt 0x0
	v_and_b32_e32 v1, s7, v1
	v_and_b32_e32 v0, s6, v0
	s_delay_alu instid0(VALU_DEP_2) | instskip(NEXT) | instid1(VALU_DEP_2)
	v_mul_lo_u32 v1, 24, v1
	v_mul_lo_u32 v2, 0, v0
	v_mul_hi_u32 v3, 24, v0
	v_mul_lo_u32 v0, 24, v0
	s_delay_alu instid0(VALU_DEP_3) | instskip(NEXT) | instid1(VALU_DEP_2)
	v_add_nc_u32_e32 v1, v1, v2
	v_add_co_u32 v4, vcc_lo, v6, v0
	s_delay_alu instid0(VALU_DEP_2) | instskip(SKIP_1) | instid1(VALU_DEP_1)
	v_add_nc_u32_e32 v1, v1, v3
	s_wait_alu 0xfffd
	v_add_co_ci_u32_e64 v5, null, v7, v1, vcc_lo
	global_store_b64 v[4:5], v[15:16], off
	global_wb scope:SCOPE_SYS
	s_wait_storecnt 0x0
	global_atomic_cmpswap_b64 v[2:3], v12, v[13:16], s[4:5] offset:32 th:TH_ATOMIC_RETURN scope:SCOPE_SYS
	s_wait_loadcnt 0x0
	v_cmpx_ne_u64_e64 v[2:3], v[15:16]
	s_cbranch_execz .LBB5_559
; %bb.557:
	s_mov_b32 s10, 0
.LBB5_558:                              ; =>This Inner Loop Header: Depth=1
	v_dual_mov_b32 v0, s6 :: v_dual_mov_b32 v1, s7
	s_sleep 1
	global_store_b64 v[4:5], v[2:3], off
	global_wb scope:SCOPE_SYS
	s_wait_storecnt 0x0
	global_atomic_cmpswap_b64 v[0:1], v12, v[0:3], s[4:5] offset:32 th:TH_ATOMIC_RETURN scope:SCOPE_SYS
	s_wait_loadcnt 0x0
	v_cmp_eq_u64_e32 vcc_lo, v[0:1], v[2:3]
	v_dual_mov_b32 v3, v1 :: v_dual_mov_b32 v2, v0
	s_wait_alu 0xfffe
	s_or_b32 s10, vcc_lo, s10
	s_wait_alu 0xfffe
	s_and_not1_b32 exec_lo, exec_lo, s10
	s_cbranch_execnz .LBB5_558
.LBB5_559:
	s_wait_alu 0xfffe
	s_or_b32 exec_lo, exec_lo, s9
	v_mov_b32_e32 v3, 0
	s_mov_b32 s10, exec_lo
	s_mov_b32 s9, exec_lo
	s_wait_alu 0xfffe
	v_mbcnt_lo_u32_b32 v2, s10, 0
	global_load_b64 v[0:1], v3, s[4:5] offset:16
	v_cmpx_eq_u32_e32 0, v2
	s_cbranch_execz .LBB5_561
; %bb.560:
	s_bcnt1_i32_b32 s10, s10
	s_wait_alu 0xfffe
	v_mov_b32_e32 v2, s10
	global_wb scope:SCOPE_SYS
	s_wait_loadcnt 0x0
	s_wait_storecnt 0x0
	global_atomic_add_u64 v[0:1], v[2:3], off offset:8 scope:SCOPE_SYS
.LBB5_561:
	s_or_b32 exec_lo, exec_lo, s9
	s_wait_loadcnt 0x0
	global_load_b64 v[2:3], v[0:1], off offset:16
	s_wait_loadcnt 0x0
	v_cmp_eq_u64_e32 vcc_lo, 0, v[2:3]
	s_cbranch_vccnz .LBB5_563
; %bb.562:
	global_load_b32 v0, v[0:1], off offset:24
	v_mov_b32_e32 v1, 0
	s_wait_loadcnt 0x0
	v_readfirstlane_b32 s9, v0
	global_wb scope:SCOPE_SYS
	s_wait_storecnt 0x0
	global_store_b64 v[2:3], v[0:1], off scope:SCOPE_SYS
	s_and_b32 m0, s9, 0xffffff
	s_sendmsg sendmsg(MSG_INTERRUPT)
.LBB5_563:
	s_wait_alu 0xfffe
	s_or_b32 exec_lo, exec_lo, s8
	s_branch .LBB5_567
.LBB5_564:                              ;   in Loop: Header=BB5_567 Depth=1
	s_wait_alu 0xfffe
	s_or_b32 exec_lo, exec_lo, s8
	s_delay_alu instid0(VALU_DEP_1)
	v_readfirstlane_b32 s8, v0
	s_cmp_eq_u32 s8, 0
	s_cbranch_scc1 .LBB5_566
; %bb.565:                              ;   in Loop: Header=BB5_567 Depth=1
	s_sleep 1
	s_cbranch_execnz .LBB5_567
	s_branch .LBB5_569
.LBB5_566:
	s_branch .LBB5_569
.LBB5_567:                              ; =>This Inner Loop Header: Depth=1
	v_mov_b32_e32 v0, 1
	s_and_saveexec_b32 s8, s3
	s_cbranch_execz .LBB5_564
; %bb.568:                              ;   in Loop: Header=BB5_567 Depth=1
	global_load_b32 v0, v[10:11], off offset:20 scope:SCOPE_SYS
	s_wait_loadcnt 0x0
	global_inv scope:SCOPE_SYS
	v_and_b32_e32 v0, 1, v0
	s_branch .LBB5_564
.LBB5_569:
	global_load_b64 v[0:1], v[8:9], off
	s_and_saveexec_b32 s8, s3
	s_cbranch_execz .LBB5_573
; %bb.570:
	v_mov_b32_e32 v8, 0
	s_clause 0x2
	global_load_b64 v[2:3], v8, s[4:5] offset:40
	global_load_b64 v[11:12], v8, s[4:5] offset:24 scope:SCOPE_SYS
	global_load_b64 v[4:5], v8, s[4:5]
	s_wait_loadcnt 0x2
	v_readfirstlane_b32 s10, v2
	v_readfirstlane_b32 s11, v3
	s_add_nc_u64 s[12:13], s[10:11], 1
	s_wait_alu 0xfffe
	s_add_nc_u64 s[6:7], s[12:13], s[6:7]
	s_wait_alu 0xfffe
	s_cmp_eq_u64 s[6:7], 0
	s_cselect_b32 s7, s13, s7
	s_cselect_b32 s6, s12, s6
	s_wait_alu 0xfffe
	v_mov_b32_e32 v10, s7
	s_and_b64 s[10:11], s[6:7], s[10:11]
	v_mov_b32_e32 v9, s6
	s_wait_alu 0xfffe
	s_mul_u64 s[10:11], s[10:11], 24
	s_wait_loadcnt 0x0
	s_wait_alu 0xfffe
	v_add_co_u32 v6, vcc_lo, v4, s10
	s_wait_alu 0xfffd
	v_add_co_ci_u32_e64 v7, null, s11, v5, vcc_lo
	global_store_b64 v[6:7], v[11:12], off
	global_wb scope:SCOPE_SYS
	s_wait_storecnt 0x0
	global_atomic_cmpswap_b64 v[4:5], v8, v[9:12], s[4:5] offset:24 th:TH_ATOMIC_RETURN scope:SCOPE_SYS
	s_wait_loadcnt 0x0
	v_cmp_ne_u64_e32 vcc_lo, v[4:5], v[11:12]
	s_and_b32 exec_lo, exec_lo, vcc_lo
	s_cbranch_execz .LBB5_573
; %bb.571:
	s_mov_b32 s3, 0
.LBB5_572:                              ; =>This Inner Loop Header: Depth=1
	v_dual_mov_b32 v2, s6 :: v_dual_mov_b32 v3, s7
	s_sleep 1
	global_store_b64 v[6:7], v[4:5], off
	global_wb scope:SCOPE_SYS
	s_wait_storecnt 0x0
	global_atomic_cmpswap_b64 v[2:3], v8, v[2:5], s[4:5] offset:24 th:TH_ATOMIC_RETURN scope:SCOPE_SYS
	s_wait_loadcnt 0x0
	v_cmp_eq_u64_e32 vcc_lo, v[2:3], v[4:5]
	v_dual_mov_b32 v5, v3 :: v_dual_mov_b32 v4, v2
	s_wait_alu 0xfffe
	s_or_b32 s3, vcc_lo, s3
	s_wait_alu 0xfffe
	s_and_not1_b32 exec_lo, exec_lo, s3
	s_cbranch_execnz .LBB5_572
.LBB5_573:
	s_wait_alu 0xfffe
	s_or_b32 exec_lo, exec_lo, s8
	v_readfirstlane_b32 s3, v33
	v_mov_b32_e32 v8, 0
	v_mov_b32_e32 v9, 0
	s_wait_alu 0xf1ff
	s_delay_alu instid0(VALU_DEP_3)
	v_cmp_eq_u32_e64 s3, s3, v33
	s_and_saveexec_b32 s6, s3
	s_cbranch_execz .LBB5_579
; %bb.574:
	v_mov_b32_e32 v2, 0
	s_mov_b32 s7, exec_lo
	global_load_b64 v[5:6], v2, s[4:5] offset:24 scope:SCOPE_SYS
	s_wait_loadcnt 0x0
	global_inv scope:SCOPE_SYS
	s_clause 0x1
	global_load_b64 v[3:4], v2, s[4:5] offset:40
	global_load_b64 v[7:8], v2, s[4:5]
	s_wait_loadcnt 0x1
	v_and_b32_e32 v4, v4, v6
	v_and_b32_e32 v3, v3, v5
	s_delay_alu instid0(VALU_DEP_2) | instskip(NEXT) | instid1(VALU_DEP_2)
	v_mul_lo_u32 v4, 24, v4
	v_mul_lo_u32 v9, 0, v3
	v_mul_hi_u32 v10, 24, v3
	v_mul_lo_u32 v3, 24, v3
	s_delay_alu instid0(VALU_DEP_3) | instskip(SKIP_1) | instid1(VALU_DEP_2)
	v_add_nc_u32_e32 v4, v4, v9
	s_wait_loadcnt 0x0
	v_add_co_u32 v3, vcc_lo, v7, v3
	s_delay_alu instid0(VALU_DEP_2) | instskip(SKIP_1) | instid1(VALU_DEP_1)
	v_add_nc_u32_e32 v4, v4, v10
	s_wait_alu 0xfffd
	v_add_co_ci_u32_e64 v4, null, v8, v4, vcc_lo
	global_load_b64 v[3:4], v[3:4], off scope:SCOPE_SYS
	s_wait_loadcnt 0x0
	global_atomic_cmpswap_b64 v[8:9], v2, v[3:6], s[4:5] offset:24 th:TH_ATOMIC_RETURN scope:SCOPE_SYS
	s_wait_loadcnt 0x0
	global_inv scope:SCOPE_SYS
	v_cmpx_ne_u64_e64 v[8:9], v[5:6]
	s_cbranch_execz .LBB5_578
; %bb.575:
	s_mov_b32 s8, 0
.LBB5_576:                              ; =>This Inner Loop Header: Depth=1
	s_sleep 1
	s_clause 0x1
	global_load_b64 v[3:4], v2, s[4:5] offset:40
	global_load_b64 v[10:11], v2, s[4:5]
	v_dual_mov_b32 v5, v8 :: v_dual_mov_b32 v6, v9
	s_wait_loadcnt 0x1
	s_delay_alu instid0(VALU_DEP_1) | instskip(NEXT) | instid1(VALU_DEP_2)
	v_and_b32_e32 v3, v3, v5
	v_and_b32_e32 v4, v4, v6
	s_wait_loadcnt 0x0
	s_delay_alu instid0(VALU_DEP_2) | instskip(NEXT) | instid1(VALU_DEP_1)
	v_mad_co_u64_u32 v[7:8], null, v3, 24, v[10:11]
	v_mov_b32_e32 v3, v8
	s_delay_alu instid0(VALU_DEP_1) | instskip(NEXT) | instid1(VALU_DEP_1)
	v_mad_co_u64_u32 v[3:4], null, v4, 24, v[3:4]
	v_mov_b32_e32 v8, v3
	global_load_b64 v[3:4], v[7:8], off scope:SCOPE_SYS
	s_wait_loadcnt 0x0
	global_atomic_cmpswap_b64 v[8:9], v2, v[3:6], s[4:5] offset:24 th:TH_ATOMIC_RETURN scope:SCOPE_SYS
	s_wait_loadcnt 0x0
	global_inv scope:SCOPE_SYS
	v_cmp_eq_u64_e32 vcc_lo, v[8:9], v[5:6]
	s_wait_alu 0xfffe
	s_or_b32 s8, vcc_lo, s8
	s_wait_alu 0xfffe
	s_and_not1_b32 exec_lo, exec_lo, s8
	s_cbranch_execnz .LBB5_576
; %bb.577:
	s_or_b32 exec_lo, exec_lo, s8
.LBB5_578:
	s_wait_alu 0xfffe
	s_or_b32 exec_lo, exec_lo, s7
.LBB5_579:
	s_wait_alu 0xfffe
	s_or_b32 exec_lo, exec_lo, s6
	v_readfirstlane_b32 s6, v8
	v_mov_b32_e32 v3, 0
	v_readfirstlane_b32 s7, v9
	s_mov_b32 s8, exec_lo
	s_clause 0x1
	global_load_b64 v[10:11], v3, s[4:5] offset:40
	global_load_b128 v[4:7], v3, s[4:5]
	s_wait_loadcnt 0x1
	s_wait_alu 0xf1ff
	v_and_b32_e32 v11, s7, v11
	v_and_b32_e32 v10, s6, v10
	s_delay_alu instid0(VALU_DEP_2) | instskip(NEXT) | instid1(VALU_DEP_2)
	v_mul_lo_u32 v2, 24, v11
	v_mul_lo_u32 v8, 0, v10
	v_mul_hi_u32 v9, 24, v10
	v_mul_lo_u32 v12, 24, v10
	s_delay_alu instid0(VALU_DEP_3) | instskip(SKIP_1) | instid1(VALU_DEP_2)
	v_add_nc_u32_e32 v2, v2, v8
	s_wait_loadcnt 0x0
	v_add_co_u32 v8, vcc_lo, v4, v12
	s_delay_alu instid0(VALU_DEP_2) | instskip(SKIP_1) | instid1(VALU_DEP_1)
	v_add_nc_u32_e32 v2, v2, v9
	s_wait_alu 0xfffd
	v_add_co_ci_u32_e64 v9, null, v5, v2, vcc_lo
	s_and_saveexec_b32 s9, s3
	s_cbranch_execz .LBB5_581
; %bb.580:
	s_wait_alu 0xfffe
	v_dual_mov_b32 v2, s8 :: v_dual_mov_b32 v15, 1
	v_dual_mov_b32 v14, 2 :: v_dual_mov_b32 v13, v3
	s_delay_alu instid0(VALU_DEP_2)
	v_mov_b32_e32 v12, v2
	global_store_b128 v[8:9], v[12:15], off offset:8
.LBB5_581:
	s_wait_alu 0xfffe
	s_or_b32 exec_lo, exec_lo, s9
	v_lshlrev_b64_e32 v[10:11], 12, v[10:11]
	s_mov_b32 s8, 0
	v_cndmask_b32_e64 v2, -1, v31, s2
	s_wait_alu 0xfffe
	s_mov_b32 s11, s8
	s_mov_b32 s9, s8
	;; [unrolled: 1-line block ×3, first 2 shown]
	v_add_co_u32 v6, vcc_lo, v6, v10
	s_wait_alu 0xfffd
	v_add_co_ci_u32_e64 v7, null, v7, v11, vcc_lo
	v_and_or_b32 v0, 0xffffff1f, v0, 32
	s_delay_alu instid0(VALU_DEP_3) | instskip(SKIP_1) | instid1(VALU_DEP_4)
	v_add_co_u32 v10, vcc_lo, v6, v32
	v_readfirstlane_b32 s12, v6
	v_readfirstlane_b32 s13, v7
	s_wait_alu 0xfffe
	v_dual_mov_b32 v15, s11 :: v_dual_mov_b32 v14, s10
	s_wait_alu 0xfffd
	v_add_co_ci_u32_e64 v11, null, 0, v7, vcc_lo
	v_dual_mov_b32 v13, s9 :: v_dual_mov_b32 v12, s8
	s_clause 0x3
	global_store_b128 v32, v[0:3], s[12:13]
	global_store_b128 v32, v[12:15], s[12:13] offset:16
	global_store_b128 v32, v[12:15], s[12:13] offset:32
	;; [unrolled: 1-line block ×3, first 2 shown]
	s_and_saveexec_b32 s2, s3
	s_cbranch_execz .LBB5_589
; %bb.582:
	v_mov_b32_e32 v7, 0
	v_mov_b32_e32 v13, s7
	s_mov_b32 s8, exec_lo
	s_clause 0x1
	global_load_b64 v[14:15], v7, s[4:5] offset:32 scope:SCOPE_SYS
	global_load_b64 v[0:1], v7, s[4:5] offset:40
	s_wait_loadcnt 0x0
	v_dual_mov_b32 v12, s6 :: v_dual_and_b32 v1, s7, v1
	v_and_b32_e32 v0, s6, v0
	s_delay_alu instid0(VALU_DEP_2) | instskip(NEXT) | instid1(VALU_DEP_2)
	v_mul_lo_u32 v1, 24, v1
	v_mul_lo_u32 v3, 0, v0
	v_mul_hi_u32 v6, 24, v0
	v_mul_lo_u32 v0, 24, v0
	s_delay_alu instid0(VALU_DEP_3) | instskip(NEXT) | instid1(VALU_DEP_2)
	v_add_nc_u32_e32 v1, v1, v3
	v_add_co_u32 v0, vcc_lo, v4, v0
	s_delay_alu instid0(VALU_DEP_2) | instskip(SKIP_1) | instid1(VALU_DEP_1)
	v_add_nc_u32_e32 v1, v1, v6
	s_wait_alu 0xfffd
	v_add_co_ci_u32_e64 v1, null, v5, v1, vcc_lo
	global_store_b64 v[0:1], v[14:15], off
	global_wb scope:SCOPE_SYS
	s_wait_storecnt 0x0
	global_atomic_cmpswap_b64 v[5:6], v7, v[12:15], s[4:5] offset:32 th:TH_ATOMIC_RETURN scope:SCOPE_SYS
	s_wait_loadcnt 0x0
	v_cmpx_ne_u64_e64 v[5:6], v[14:15]
	s_cbranch_execz .LBB5_585
; %bb.583:
	s_mov_b32 s9, 0
.LBB5_584:                              ; =>This Inner Loop Header: Depth=1
	v_dual_mov_b32 v3, s6 :: v_dual_mov_b32 v4, s7
	s_sleep 1
	global_store_b64 v[0:1], v[5:6], off
	global_wb scope:SCOPE_SYS
	s_wait_storecnt 0x0
	global_atomic_cmpswap_b64 v[3:4], v7, v[3:6], s[4:5] offset:32 th:TH_ATOMIC_RETURN scope:SCOPE_SYS
	s_wait_loadcnt 0x0
	v_cmp_eq_u64_e32 vcc_lo, v[3:4], v[5:6]
	v_dual_mov_b32 v6, v4 :: v_dual_mov_b32 v5, v3
	s_wait_alu 0xfffe
	s_or_b32 s9, vcc_lo, s9
	s_wait_alu 0xfffe
	s_and_not1_b32 exec_lo, exec_lo, s9
	s_cbranch_execnz .LBB5_584
.LBB5_585:
	s_wait_alu 0xfffe
	s_or_b32 exec_lo, exec_lo, s8
	v_mov_b32_e32 v4, 0
	s_mov_b32 s9, exec_lo
	s_mov_b32 s8, exec_lo
	s_wait_alu 0xfffe
	v_mbcnt_lo_u32_b32 v3, s9, 0
	global_load_b64 v[0:1], v4, s[4:5] offset:16
	v_cmpx_eq_u32_e32 0, v3
	s_cbranch_execz .LBB5_587
; %bb.586:
	s_bcnt1_i32_b32 s9, s9
	s_wait_alu 0xfffe
	v_mov_b32_e32 v3, s9
	global_wb scope:SCOPE_SYS
	s_wait_loadcnt 0x0
	s_wait_storecnt 0x0
	global_atomic_add_u64 v[0:1], v[3:4], off offset:8 scope:SCOPE_SYS
.LBB5_587:
	s_or_b32 exec_lo, exec_lo, s8
	s_wait_loadcnt 0x0
	global_load_b64 v[3:4], v[0:1], off offset:16
	s_wait_loadcnt 0x0
	v_cmp_eq_u64_e32 vcc_lo, 0, v[3:4]
	s_cbranch_vccnz .LBB5_589
; %bb.588:
	global_load_b32 v0, v[0:1], off offset:24
	v_mov_b32_e32 v1, 0
	s_wait_loadcnt 0x0
	v_readfirstlane_b32 s8, v0
	global_wb scope:SCOPE_SYS
	s_wait_storecnt 0x0
	global_store_b64 v[3:4], v[0:1], off scope:SCOPE_SYS
	s_and_b32 m0, s8, 0xffffff
	s_sendmsg sendmsg(MSG_INTERRUPT)
.LBB5_589:
	s_wait_alu 0xfffe
	s_or_b32 exec_lo, exec_lo, s2
	s_branch .LBB5_593
.LBB5_590:                              ;   in Loop: Header=BB5_593 Depth=1
	s_wait_alu 0xfffe
	s_or_b32 exec_lo, exec_lo, s2
	s_delay_alu instid0(VALU_DEP_1)
	v_readfirstlane_b32 s2, v0
	s_cmp_eq_u32 s2, 0
	s_cbranch_scc1 .LBB5_592
; %bb.591:                              ;   in Loop: Header=BB5_593 Depth=1
	s_sleep 1
	s_cbranch_execnz .LBB5_593
	s_branch .LBB5_595
.LBB5_592:
	s_branch .LBB5_595
.LBB5_593:                              ; =>This Inner Loop Header: Depth=1
	v_mov_b32_e32 v0, 1
	s_and_saveexec_b32 s2, s3
	s_cbranch_execz .LBB5_590
; %bb.594:                              ;   in Loop: Header=BB5_593 Depth=1
	global_load_b32 v0, v[8:9], off offset:20 scope:SCOPE_SYS
	s_wait_loadcnt 0x0
	global_inv scope:SCOPE_SYS
	v_and_b32_e32 v0, 1, v0
	s_branch .LBB5_590
.LBB5_595:
	global_load_b64 v[3:4], v[10:11], off
	s_and_saveexec_b32 s8, s3
	s_cbranch_execz .LBB5_599
; %bb.596:
	v_mov_b32_e32 v9, 0
	s_clause 0x2
	global_load_b64 v[0:1], v9, s[4:5] offset:40
	global_load_b64 v[12:13], v9, s[4:5] offset:24 scope:SCOPE_SYS
	global_load_b64 v[5:6], v9, s[4:5]
	s_wait_loadcnt 0x2
	v_readfirstlane_b32 s10, v0
	v_readfirstlane_b32 s11, v1
	s_add_nc_u64 s[2:3], s[10:11], 1
	s_wait_alu 0xfffe
	s_add_nc_u64 s[6:7], s[2:3], s[6:7]
	s_wait_alu 0xfffe
	s_cmp_eq_u64 s[6:7], 0
	s_cselect_b32 s3, s3, s7
	s_cselect_b32 s2, s2, s6
	s_wait_alu 0xfffe
	v_mov_b32_e32 v11, s3
	s_and_b64 s[6:7], s[2:3], s[10:11]
	v_mov_b32_e32 v10, s2
	s_wait_alu 0xfffe
	s_mul_u64 s[6:7], s[6:7], 24
	s_wait_loadcnt 0x0
	s_wait_alu 0xfffe
	v_add_co_u32 v0, vcc_lo, v5, s6
	s_wait_alu 0xfffd
	v_add_co_ci_u32_e64 v1, null, s7, v6, vcc_lo
	global_store_b64 v[0:1], v[12:13], off
	global_wb scope:SCOPE_SYS
	s_wait_storecnt 0x0
	global_atomic_cmpswap_b64 v[7:8], v9, v[10:13], s[4:5] offset:24 th:TH_ATOMIC_RETURN scope:SCOPE_SYS
	s_wait_loadcnt 0x0
	v_cmp_ne_u64_e32 vcc_lo, v[7:8], v[12:13]
	s_and_b32 exec_lo, exec_lo, vcc_lo
	s_cbranch_execz .LBB5_599
; %bb.597:
	s_mov_b32 s6, 0
.LBB5_598:                              ; =>This Inner Loop Header: Depth=1
	v_dual_mov_b32 v5, s2 :: v_dual_mov_b32 v6, s3
	s_sleep 1
	global_store_b64 v[0:1], v[7:8], off
	global_wb scope:SCOPE_SYS
	s_wait_storecnt 0x0
	global_atomic_cmpswap_b64 v[5:6], v9, v[5:8], s[4:5] offset:24 th:TH_ATOMIC_RETURN scope:SCOPE_SYS
	s_wait_loadcnt 0x0
	v_cmp_eq_u64_e32 vcc_lo, v[5:6], v[7:8]
	v_dual_mov_b32 v8, v6 :: v_dual_mov_b32 v7, v5
	s_wait_alu 0xfffe
	s_or_b32 s6, vcc_lo, s6
	s_wait_alu 0xfffe
	s_and_not1_b32 exec_lo, exec_lo, s6
	s_cbranch_execnz .LBB5_598
.LBB5_599:
	s_wait_alu 0xfffe
	s_or_b32 exec_lo, exec_lo, s8
	v_readfirstlane_b32 s2, v33
	v_mov_b32_e32 v0, 0
	v_mov_b32_e32 v1, 0
	s_wait_alu 0xf1ff
	s_delay_alu instid0(VALU_DEP_3)
	v_cmp_eq_u32_e64 s2, s2, v33
	s_and_saveexec_b32 s3, s2
	s_cbranch_execz .LBB5_605
; %bb.600:
	v_mov_b32_e32 v5, 0
	s_mov_b32 s6, exec_lo
	global_load_b64 v[8:9], v5, s[4:5] offset:24 scope:SCOPE_SYS
	s_wait_loadcnt 0x0
	global_inv scope:SCOPE_SYS
	s_clause 0x1
	global_load_b64 v[0:1], v5, s[4:5] offset:40
	global_load_b64 v[6:7], v5, s[4:5]
	s_wait_loadcnt 0x1
	v_and_b32_e32 v1, v1, v9
	v_and_b32_e32 v0, v0, v8
	s_delay_alu instid0(VALU_DEP_2) | instskip(NEXT) | instid1(VALU_DEP_2)
	v_mul_lo_u32 v1, 24, v1
	v_mul_lo_u32 v10, 0, v0
	v_mul_hi_u32 v11, 24, v0
	v_mul_lo_u32 v0, 24, v0
	s_delay_alu instid0(VALU_DEP_3) | instskip(SKIP_1) | instid1(VALU_DEP_2)
	v_add_nc_u32_e32 v1, v1, v10
	s_wait_loadcnt 0x0
	v_add_co_u32 v0, vcc_lo, v6, v0
	s_delay_alu instid0(VALU_DEP_2) | instskip(SKIP_1) | instid1(VALU_DEP_1)
	v_add_nc_u32_e32 v1, v1, v11
	s_wait_alu 0xfffd
	v_add_co_ci_u32_e64 v1, null, v7, v1, vcc_lo
	global_load_b64 v[6:7], v[0:1], off scope:SCOPE_SYS
	s_wait_loadcnt 0x0
	global_atomic_cmpswap_b64 v[0:1], v5, v[6:9], s[4:5] offset:24 th:TH_ATOMIC_RETURN scope:SCOPE_SYS
	s_wait_loadcnt 0x0
	global_inv scope:SCOPE_SYS
	v_cmpx_ne_u64_e64 v[0:1], v[8:9]
	s_cbranch_execz .LBB5_604
; %bb.601:
	s_mov_b32 s7, 0
.LBB5_602:                              ; =>This Inner Loop Header: Depth=1
	s_sleep 1
	s_clause 0x1
	global_load_b64 v[6:7], v5, s[4:5] offset:40
	global_load_b64 v[10:11], v5, s[4:5]
	v_dual_mov_b32 v9, v1 :: v_dual_mov_b32 v8, v0
	s_wait_loadcnt 0x1
	s_delay_alu instid0(VALU_DEP_1) | instskip(NEXT) | instid1(VALU_DEP_2)
	v_and_b32_e32 v0, v6, v8
	v_and_b32_e32 v6, v7, v9
	s_wait_loadcnt 0x0
	s_delay_alu instid0(VALU_DEP_2) | instskip(NEXT) | instid1(VALU_DEP_1)
	v_mad_co_u64_u32 v[0:1], null, v0, 24, v[10:11]
	v_mad_co_u64_u32 v[6:7], null, v6, 24, v[1:2]
	s_delay_alu instid0(VALU_DEP_1)
	v_mov_b32_e32 v1, v6
	global_load_b64 v[6:7], v[0:1], off scope:SCOPE_SYS
	s_wait_loadcnt 0x0
	global_atomic_cmpswap_b64 v[0:1], v5, v[6:9], s[4:5] offset:24 th:TH_ATOMIC_RETURN scope:SCOPE_SYS
	s_wait_loadcnt 0x0
	global_inv scope:SCOPE_SYS
	v_cmp_eq_u64_e32 vcc_lo, v[0:1], v[8:9]
	s_wait_alu 0xfffe
	s_or_b32 s7, vcc_lo, s7
	s_wait_alu 0xfffe
	s_and_not1_b32 exec_lo, exec_lo, s7
	s_cbranch_execnz .LBB5_602
; %bb.603:
	s_or_b32 exec_lo, exec_lo, s7
.LBB5_604:
	s_wait_alu 0xfffe
	s_or_b32 exec_lo, exec_lo, s6
.LBB5_605:
	s_wait_alu 0xfffe
	s_or_b32 exec_lo, exec_lo, s3
	v_readfirstlane_b32 s6, v0
	v_mov_b32_e32 v6, 0
	v_readfirstlane_b32 s7, v1
	s_mov_b32 s3, exec_lo
	s_clause 0x1
	global_load_b64 v[11:12], v6, s[4:5] offset:40
	global_load_b128 v[7:10], v6, s[4:5]
	s_wait_loadcnt 0x1
	s_wait_alu 0xf1ff
	v_and_b32_e32 v12, s7, v12
	v_and_b32_e32 v11, s6, v11
	s_delay_alu instid0(VALU_DEP_2) | instskip(NEXT) | instid1(VALU_DEP_2)
	v_mul_lo_u32 v0, 24, v12
	v_mul_lo_u32 v1, 0, v11
	v_mul_hi_u32 v5, 24, v11
	v_mul_lo_u32 v13, 24, v11
	s_delay_alu instid0(VALU_DEP_3) | instskip(NEXT) | instid1(VALU_DEP_1)
	v_add_nc_u32_e32 v0, v0, v1
	v_add_nc_u32_e32 v1, v0, v5
	s_wait_loadcnt 0x0
	s_delay_alu instid0(VALU_DEP_3) | instskip(SKIP_1) | instid1(VALU_DEP_2)
	v_add_co_u32 v0, vcc_lo, v7, v13
	s_wait_alu 0xfffd
	v_add_co_ci_u32_e64 v1, null, v8, v1, vcc_lo
	s_and_saveexec_b32 s8, s2
	s_cbranch_execz .LBB5_607
; %bb.606:
	s_wait_alu 0xfffe
	v_dual_mov_b32 v5, s3 :: v_dual_mov_b32 v16, 1
	v_dual_mov_b32 v15, 2 :: v_dual_mov_b32 v14, v6
	s_delay_alu instid0(VALU_DEP_2)
	v_mov_b32_e32 v13, v5
	global_store_b128 v[0:1], v[13:16], off offset:8
.LBB5_607:
	s_wait_alu 0xfffe
	s_or_b32 exec_lo, exec_lo, s8
	v_lshlrev_b64_e32 v[11:12], 12, v[11:12]
	s_mov_b32 s8, 0
	v_lshrrev_b32_e32 v5, 4, v26
	s_wait_alu 0xfffe
	s_mov_b32 s11, s8
	s_mov_b32 s9, s8
	;; [unrolled: 1-line block ×3, first 2 shown]
	v_add_co_u32 v9, vcc_lo, v9, v11
	s_wait_alu 0xfffd
	v_add_co_ci_u32_e64 v11, null, v10, v12, vcc_lo
	v_and_or_b32 v3, 0xffffff1f, v3, 32
	s_delay_alu instid0(VALU_DEP_3) | instskip(SKIP_1) | instid1(VALU_DEP_4)
	v_add_co_u32 v10, vcc_lo, v9, v32
	v_readfirstlane_b32 s12, v9
	v_readfirstlane_b32 s13, v11
	s_wait_alu 0xfffe
	v_dual_mov_b32 v15, s11 :: v_dual_mov_b32 v14, s10
	s_wait_alu 0xfffd
	v_add_co_ci_u32_e64 v11, null, 0, v11, vcc_lo
	v_dual_mov_b32 v13, s9 :: v_dual_mov_b32 v12, s8
	s_clause 0x3
	global_store_b128 v32, v[3:6], s[12:13]
	global_store_b128 v32, v[12:15], s[12:13] offset:16
	global_store_b128 v32, v[12:15], s[12:13] offset:32
	;; [unrolled: 1-line block ×3, first 2 shown]
	s_and_saveexec_b32 s3, s2
	s_cbranch_execz .LBB5_615
; %bb.608:
	v_mov_b32_e32 v12, 0
	v_mov_b32_e32 v14, s7
	s_mov_b32 s8, exec_lo
	s_clause 0x1
	global_load_b64 v[15:16], v12, s[4:5] offset:32 scope:SCOPE_SYS
	global_load_b64 v[3:4], v12, s[4:5] offset:40
	s_wait_loadcnt 0x0
	v_dual_mov_b32 v13, s6 :: v_dual_and_b32 v4, s7, v4
	v_and_b32_e32 v3, s6, v3
	s_delay_alu instid0(VALU_DEP_2) | instskip(NEXT) | instid1(VALU_DEP_2)
	v_mul_lo_u32 v4, 24, v4
	v_mul_lo_u32 v6, 0, v3
	v_mul_hi_u32 v9, 24, v3
	v_mul_lo_u32 v3, 24, v3
	s_delay_alu instid0(VALU_DEP_3) | instskip(NEXT) | instid1(VALU_DEP_2)
	v_add_nc_u32_e32 v4, v4, v6
	v_add_co_u32 v3, vcc_lo, v7, v3
	s_delay_alu instid0(VALU_DEP_2) | instskip(SKIP_1) | instid1(VALU_DEP_1)
	v_add_nc_u32_e32 v4, v4, v9
	s_wait_alu 0xfffd
	v_add_co_ci_u32_e64 v4, null, v8, v4, vcc_lo
	global_store_b64 v[3:4], v[15:16], off
	global_wb scope:SCOPE_SYS
	s_wait_storecnt 0x0
	global_atomic_cmpswap_b64 v[8:9], v12, v[13:16], s[4:5] offset:32 th:TH_ATOMIC_RETURN scope:SCOPE_SYS
	s_wait_loadcnt 0x0
	v_cmpx_ne_u64_e64 v[8:9], v[15:16]
	s_cbranch_execz .LBB5_611
; %bb.609:
	s_mov_b32 s9, 0
.LBB5_610:                              ; =>This Inner Loop Header: Depth=1
	v_dual_mov_b32 v6, s6 :: v_dual_mov_b32 v7, s7
	s_sleep 1
	global_store_b64 v[3:4], v[8:9], off
	global_wb scope:SCOPE_SYS
	s_wait_storecnt 0x0
	global_atomic_cmpswap_b64 v[6:7], v12, v[6:9], s[4:5] offset:32 th:TH_ATOMIC_RETURN scope:SCOPE_SYS
	s_wait_loadcnt 0x0
	v_cmp_eq_u64_e32 vcc_lo, v[6:7], v[8:9]
	v_dual_mov_b32 v9, v7 :: v_dual_mov_b32 v8, v6
	s_wait_alu 0xfffe
	s_or_b32 s9, vcc_lo, s9
	s_wait_alu 0xfffe
	s_and_not1_b32 exec_lo, exec_lo, s9
	s_cbranch_execnz .LBB5_610
.LBB5_611:
	s_wait_alu 0xfffe
	s_or_b32 exec_lo, exec_lo, s8
	v_mov_b32_e32 v7, 0
	s_mov_b32 s9, exec_lo
	s_mov_b32 s8, exec_lo
	s_wait_alu 0xfffe
	v_mbcnt_lo_u32_b32 v6, s9, 0
	global_load_b64 v[3:4], v7, s[4:5] offset:16
	v_cmpx_eq_u32_e32 0, v6
	s_cbranch_execz .LBB5_613
; %bb.612:
	s_bcnt1_i32_b32 s9, s9
	s_wait_alu 0xfffe
	v_mov_b32_e32 v6, s9
	global_wb scope:SCOPE_SYS
	s_wait_loadcnt 0x0
	s_wait_storecnt 0x0
	global_atomic_add_u64 v[3:4], v[6:7], off offset:8 scope:SCOPE_SYS
.LBB5_613:
	s_or_b32 exec_lo, exec_lo, s8
	s_wait_loadcnt 0x0
	global_load_b64 v[6:7], v[3:4], off offset:16
	s_wait_loadcnt 0x0
	v_cmp_eq_u64_e32 vcc_lo, 0, v[6:7]
	s_cbranch_vccnz .LBB5_615
; %bb.614:
	global_load_b32 v3, v[3:4], off offset:24
	v_mov_b32_e32 v4, 0
	s_wait_loadcnt 0x0
	v_readfirstlane_b32 s8, v3
	global_wb scope:SCOPE_SYS
	s_wait_storecnt 0x0
	global_store_b64 v[6:7], v[3:4], off scope:SCOPE_SYS
	s_and_b32 m0, s8, 0xffffff
	s_sendmsg sendmsg(MSG_INTERRUPT)
.LBB5_615:
	s_wait_alu 0xfffe
	s_or_b32 exec_lo, exec_lo, s3
	s_branch .LBB5_619
.LBB5_616:                              ;   in Loop: Header=BB5_619 Depth=1
	s_wait_alu 0xfffe
	s_or_b32 exec_lo, exec_lo, s3
	s_delay_alu instid0(VALU_DEP_1)
	v_readfirstlane_b32 s3, v3
	s_cmp_eq_u32 s3, 0
	s_cbranch_scc1 .LBB5_618
; %bb.617:                              ;   in Loop: Header=BB5_619 Depth=1
	s_sleep 1
	s_cbranch_execnz .LBB5_619
	s_branch .LBB5_621
.LBB5_618:
	s_branch .LBB5_621
.LBB5_619:                              ; =>This Inner Loop Header: Depth=1
	v_mov_b32_e32 v3, 1
	s_and_saveexec_b32 s3, s2
	s_cbranch_execz .LBB5_616
; %bb.620:                              ;   in Loop: Header=BB5_619 Depth=1
	global_load_b32 v3, v[0:1], off offset:20 scope:SCOPE_SYS
	s_wait_loadcnt 0x0
	global_inv scope:SCOPE_SYS
	v_and_b32_e32 v3, 1, v3
	s_branch .LBB5_616
.LBB5_621:
	global_load_b64 v[6:7], v[10:11], off
	s_and_saveexec_b32 s8, s2
	s_cbranch_execz .LBB5_625
; %bb.622:
	v_mov_b32_e32 v3, 0
	s_clause 0x2
	global_load_b64 v[0:1], v3, s[4:5] offset:40
	global_load_b64 v[12:13], v3, s[4:5] offset:24 scope:SCOPE_SYS
	global_load_b64 v[8:9], v3, s[4:5]
	s_wait_loadcnt 0x2
	v_readfirstlane_b32 s10, v0
	v_readfirstlane_b32 s11, v1
	s_add_nc_u64 s[2:3], s[10:11], 1
	s_wait_alu 0xfffe
	s_add_nc_u64 s[6:7], s[2:3], s[6:7]
	s_wait_alu 0xfffe
	s_cmp_eq_u64 s[6:7], 0
	s_cselect_b32 s3, s3, s7
	s_cselect_b32 s2, s2, s6
	s_wait_alu 0xfffe
	v_mov_b32_e32 v11, s3
	s_and_b64 s[6:7], s[2:3], s[10:11]
	v_mov_b32_e32 v10, s2
	s_wait_alu 0xfffe
	s_mul_u64 s[6:7], s[6:7], 24
	s_wait_loadcnt 0x0
	s_wait_alu 0xfffe
	v_add_co_u32 v0, vcc_lo, v8, s6
	s_wait_alu 0xfffd
	v_add_co_ci_u32_e64 v1, null, s7, v9, vcc_lo
	global_store_b64 v[0:1], v[12:13], off
	global_wb scope:SCOPE_SYS
	s_wait_storecnt 0x0
	global_atomic_cmpswap_b64 v[10:11], v3, v[10:13], s[4:5] offset:24 th:TH_ATOMIC_RETURN scope:SCOPE_SYS
	s_wait_loadcnt 0x0
	v_cmp_ne_u64_e32 vcc_lo, v[10:11], v[12:13]
	s_and_b32 exec_lo, exec_lo, vcc_lo
	s_cbranch_execz .LBB5_625
; %bb.623:
	s_mov_b32 s6, 0
.LBB5_624:                              ; =>This Inner Loop Header: Depth=1
	v_dual_mov_b32 v8, s2 :: v_dual_mov_b32 v9, s3
	s_sleep 1
	global_store_b64 v[0:1], v[10:11], off
	global_wb scope:SCOPE_SYS
	s_wait_storecnt 0x0
	global_atomic_cmpswap_b64 v[8:9], v3, v[8:11], s[4:5] offset:24 th:TH_ATOMIC_RETURN scope:SCOPE_SYS
	s_wait_loadcnt 0x0
	v_cmp_eq_u64_e32 vcc_lo, v[8:9], v[10:11]
	v_dual_mov_b32 v11, v9 :: v_dual_mov_b32 v10, v8
	s_wait_alu 0xfffe
	s_or_b32 s6, vcc_lo, s6
	s_wait_alu 0xfffe
	s_and_not1_b32 exec_lo, exec_lo, s6
	s_cbranch_execnz .LBB5_624
.LBB5_625:
	s_wait_alu 0xfffe
	s_or_b32 exec_lo, exec_lo, s8
	v_readfirstlane_b32 s2, v33
	v_mov_b32_e32 v0, 0
	v_mov_b32_e32 v1, 0
	s_wait_alu 0xf1ff
	s_delay_alu instid0(VALU_DEP_3)
	v_cmp_eq_u32_e64 s2, s2, v33
	s_and_saveexec_b32 s3, s2
	s_cbranch_execz .LBB5_631
; %bb.626:
	v_mov_b32_e32 v3, 0
	s_mov_b32 s6, exec_lo
	global_load_b64 v[10:11], v3, s[4:5] offset:24 scope:SCOPE_SYS
	s_wait_loadcnt 0x0
	global_inv scope:SCOPE_SYS
	s_clause 0x1
	global_load_b64 v[0:1], v3, s[4:5] offset:40
	global_load_b64 v[8:9], v3, s[4:5]
	s_wait_loadcnt 0x1
	v_and_b32_e32 v1, v1, v11
	v_and_b32_e32 v0, v0, v10
	s_delay_alu instid0(VALU_DEP_2) | instskip(NEXT) | instid1(VALU_DEP_2)
	v_mul_lo_u32 v1, 24, v1
	v_mul_lo_u32 v4, 0, v0
	v_mul_hi_u32 v12, 24, v0
	v_mul_lo_u32 v0, 24, v0
	s_delay_alu instid0(VALU_DEP_3) | instskip(SKIP_1) | instid1(VALU_DEP_2)
	v_add_nc_u32_e32 v1, v1, v4
	s_wait_loadcnt 0x0
	v_add_co_u32 v0, vcc_lo, v8, v0
	s_delay_alu instid0(VALU_DEP_2) | instskip(SKIP_1) | instid1(VALU_DEP_1)
	v_add_nc_u32_e32 v1, v1, v12
	s_wait_alu 0xfffd
	v_add_co_ci_u32_e64 v1, null, v9, v1, vcc_lo
	global_load_b64 v[8:9], v[0:1], off scope:SCOPE_SYS
	s_wait_loadcnt 0x0
	global_atomic_cmpswap_b64 v[0:1], v3, v[8:11], s[4:5] offset:24 th:TH_ATOMIC_RETURN scope:SCOPE_SYS
	s_wait_loadcnt 0x0
	global_inv scope:SCOPE_SYS
	v_cmpx_ne_u64_e64 v[0:1], v[10:11]
	s_cbranch_execz .LBB5_630
; %bb.627:
	s_mov_b32 s7, 0
.LBB5_628:                              ; =>This Inner Loop Header: Depth=1
	s_sleep 1
	s_clause 0x1
	global_load_b64 v[8:9], v3, s[4:5] offset:40
	global_load_b64 v[12:13], v3, s[4:5]
	v_dual_mov_b32 v11, v1 :: v_dual_mov_b32 v10, v0
	s_wait_loadcnt 0x1
	s_delay_alu instid0(VALU_DEP_1) | instskip(NEXT) | instid1(VALU_DEP_2)
	v_and_b32_e32 v0, v8, v10
	v_and_b32_e32 v4, v9, v11
	s_wait_loadcnt 0x0
	s_delay_alu instid0(VALU_DEP_2) | instskip(NEXT) | instid1(VALU_DEP_1)
	v_mad_co_u64_u32 v[0:1], null, v0, 24, v[12:13]
	v_mad_co_u64_u32 v[8:9], null, v4, 24, v[1:2]
	s_delay_alu instid0(VALU_DEP_1)
	v_mov_b32_e32 v1, v8
	global_load_b64 v[8:9], v[0:1], off scope:SCOPE_SYS
	s_wait_loadcnt 0x0
	global_atomic_cmpswap_b64 v[0:1], v3, v[8:11], s[4:5] offset:24 th:TH_ATOMIC_RETURN scope:SCOPE_SYS
	s_wait_loadcnt 0x0
	global_inv scope:SCOPE_SYS
	v_cmp_eq_u64_e32 vcc_lo, v[0:1], v[10:11]
	s_wait_alu 0xfffe
	s_or_b32 s7, vcc_lo, s7
	s_wait_alu 0xfffe
	s_and_not1_b32 exec_lo, exec_lo, s7
	s_cbranch_execnz .LBB5_628
; %bb.629:
	s_or_b32 exec_lo, exec_lo, s7
.LBB5_630:
	s_wait_alu 0xfffe
	s_or_b32 exec_lo, exec_lo, s6
.LBB5_631:
	s_wait_alu 0xfffe
	s_or_b32 exec_lo, exec_lo, s3
	v_readfirstlane_b32 s7, v1
	v_mov_b32_e32 v9, 0
	v_readfirstlane_b32 s6, v0
	s_mov_b32 s3, exec_lo
	s_clause 0x1
	global_load_b64 v[3:4], v9, s[4:5] offset:40
	global_load_b128 v[10:13], v9, s[4:5]
	s_wait_loadcnt 0x1
	s_wait_alu 0xf1ff
	v_and_b32_e32 v4, s7, v4
	v_and_b32_e32 v3, s6, v3
	s_delay_alu instid0(VALU_DEP_2) | instskip(NEXT) | instid1(VALU_DEP_2)
	v_mul_lo_u32 v0, 24, v4
	v_mul_lo_u32 v1, 0, v3
	v_mul_hi_u32 v8, 24, v3
	v_mul_lo_u32 v14, 24, v3
	s_delay_alu instid0(VALU_DEP_3) | instskip(NEXT) | instid1(VALU_DEP_1)
	v_add_nc_u32_e32 v0, v0, v1
	v_add_nc_u32_e32 v1, v0, v8
	s_wait_loadcnt 0x0
	s_delay_alu instid0(VALU_DEP_3) | instskip(SKIP_1) | instid1(VALU_DEP_2)
	v_add_co_u32 v0, vcc_lo, v10, v14
	s_wait_alu 0xfffd
	v_add_co_ci_u32_e64 v1, null, v11, v1, vcc_lo
	s_and_saveexec_b32 s8, s2
	s_cbranch_execz .LBB5_633
; %bb.632:
	s_wait_alu 0xfffe
	v_dual_mov_b32 v8, s3 :: v_dual_mov_b32 v17, 1
	v_dual_mov_b32 v16, 2 :: v_dual_mov_b32 v15, v9
	s_delay_alu instid0(VALU_DEP_2)
	v_mov_b32_e32 v14, v8
	global_store_b128 v[0:1], v[14:17], off offset:8
.LBB5_633:
	s_wait_alu 0xfffe
	s_or_b32 exec_lo, exec_lo, s8
	v_lshlrev_b64_e32 v[3:4], 12, v[3:4]
	s_add_co_i32 s20, s20, 15
	s_mov_b32 s8, 0
	s_wait_alu 0xfffe
	s_lshr_b32 s3, s20, 4
	s_mov_b32 s11, s8
	s_mov_b32 s9, s8
	v_add_co_u32 v3, vcc_lo, v12, v3
	s_wait_alu 0xfffd
	v_add_co_ci_u32_e64 v4, null, v13, v4, vcc_lo
	s_mov_b32 s10, s8
	v_and_or_b32 v6, 0xffffff1d, v6, 34
	s_wait_alu 0xfffe
	v_dual_mov_b32 v8, s3 :: v_dual_mov_b32 v15, s11
	v_readfirstlane_b32 s12, v3
	v_readfirstlane_b32 s13, v4
	v_dual_mov_b32 v14, s10 :: v_dual_mov_b32 v13, s9
	v_mov_b32_e32 v12, s8
	s_clause 0x3
	global_store_b128 v32, v[6:9], s[12:13]
	global_store_b128 v32, v[12:15], s[12:13] offset:16
	global_store_b128 v32, v[12:15], s[12:13] offset:32
	;; [unrolled: 1-line block ×3, first 2 shown]
	s_and_saveexec_b32 s3, s2
	s_cbranch_execz .LBB5_641
; %bb.634:
	v_mov_b32_e32 v12, 0
	v_mov_b32_e32 v14, s7
	s_mov_b32 s8, exec_lo
	s_clause 0x1
	global_load_b64 v[15:16], v12, s[4:5] offset:32 scope:SCOPE_SYS
	global_load_b64 v[3:4], v12, s[4:5] offset:40
	s_wait_loadcnt 0x0
	v_dual_mov_b32 v13, s6 :: v_dual_and_b32 v4, s7, v4
	v_and_b32_e32 v3, s6, v3
	s_delay_alu instid0(VALU_DEP_2) | instskip(NEXT) | instid1(VALU_DEP_2)
	v_mul_lo_u32 v4, 24, v4
	v_mul_lo_u32 v6, 0, v3
	v_mul_hi_u32 v7, 24, v3
	v_mul_lo_u32 v3, 24, v3
	s_delay_alu instid0(VALU_DEP_3) | instskip(NEXT) | instid1(VALU_DEP_2)
	v_add_nc_u32_e32 v4, v4, v6
	v_add_co_u32 v3, vcc_lo, v10, v3
	s_delay_alu instid0(VALU_DEP_2) | instskip(SKIP_1) | instid1(VALU_DEP_1)
	v_add_nc_u32_e32 v4, v4, v7
	s_wait_alu 0xfffd
	v_add_co_ci_u32_e64 v4, null, v11, v4, vcc_lo
	global_store_b64 v[3:4], v[15:16], off
	global_wb scope:SCOPE_SYS
	s_wait_storecnt 0x0
	global_atomic_cmpswap_b64 v[8:9], v12, v[13:16], s[4:5] offset:32 th:TH_ATOMIC_RETURN scope:SCOPE_SYS
	s_wait_loadcnt 0x0
	v_cmpx_ne_u64_e64 v[8:9], v[15:16]
	s_cbranch_execz .LBB5_637
; %bb.635:
	s_mov_b32 s9, 0
.LBB5_636:                              ; =>This Inner Loop Header: Depth=1
	v_dual_mov_b32 v6, s6 :: v_dual_mov_b32 v7, s7
	s_sleep 1
	global_store_b64 v[3:4], v[8:9], off
	global_wb scope:SCOPE_SYS
	s_wait_storecnt 0x0
	global_atomic_cmpswap_b64 v[6:7], v12, v[6:9], s[4:5] offset:32 th:TH_ATOMIC_RETURN scope:SCOPE_SYS
	s_wait_loadcnt 0x0
	v_cmp_eq_u64_e32 vcc_lo, v[6:7], v[8:9]
	v_dual_mov_b32 v9, v7 :: v_dual_mov_b32 v8, v6
	s_wait_alu 0xfffe
	s_or_b32 s9, vcc_lo, s9
	s_wait_alu 0xfffe
	s_and_not1_b32 exec_lo, exec_lo, s9
	s_cbranch_execnz .LBB5_636
.LBB5_637:
	s_wait_alu 0xfffe
	s_or_b32 exec_lo, exec_lo, s8
	v_mov_b32_e32 v7, 0
	s_mov_b32 s9, exec_lo
	s_mov_b32 s8, exec_lo
	s_wait_alu 0xfffe
	v_mbcnt_lo_u32_b32 v6, s9, 0
	global_load_b64 v[3:4], v7, s[4:5] offset:16
	v_cmpx_eq_u32_e32 0, v6
	s_cbranch_execz .LBB5_639
; %bb.638:
	s_bcnt1_i32_b32 s9, s9
	s_wait_alu 0xfffe
	v_mov_b32_e32 v6, s9
	global_wb scope:SCOPE_SYS
	s_wait_loadcnt 0x0
	s_wait_storecnt 0x0
	global_atomic_add_u64 v[3:4], v[6:7], off offset:8 scope:SCOPE_SYS
.LBB5_639:
	s_or_b32 exec_lo, exec_lo, s8
	s_wait_loadcnt 0x0
	global_load_b64 v[6:7], v[3:4], off offset:16
	s_wait_loadcnt 0x0
	v_cmp_eq_u64_e32 vcc_lo, 0, v[6:7]
	s_cbranch_vccnz .LBB5_641
; %bb.640:
	global_load_b32 v3, v[3:4], off offset:24
	v_mov_b32_e32 v4, 0
	s_wait_loadcnt 0x0
	v_readfirstlane_b32 s8, v3
	global_wb scope:SCOPE_SYS
	s_wait_storecnt 0x0
	global_store_b64 v[6:7], v[3:4], off scope:SCOPE_SYS
	s_and_b32 m0, s8, 0xffffff
	s_sendmsg sendmsg(MSG_INTERRUPT)
.LBB5_641:
	s_wait_alu 0xfffe
	s_or_b32 exec_lo, exec_lo, s3
	s_branch .LBB5_645
.LBB5_642:                              ;   in Loop: Header=BB5_645 Depth=1
	s_wait_alu 0xfffe
	s_or_b32 exec_lo, exec_lo, s3
	s_delay_alu instid0(VALU_DEP_1)
	v_readfirstlane_b32 s3, v3
	s_cmp_eq_u32 s3, 0
	s_cbranch_scc1 .LBB5_644
; %bb.643:                              ;   in Loop: Header=BB5_645 Depth=1
	s_sleep 1
	s_cbranch_execnz .LBB5_645
	s_branch .LBB5_647
.LBB5_644:
	s_branch .LBB5_647
.LBB5_645:                              ; =>This Inner Loop Header: Depth=1
	v_mov_b32_e32 v3, 1
	s_and_saveexec_b32 s3, s2
	s_cbranch_execz .LBB5_642
; %bb.646:                              ;   in Loop: Header=BB5_645 Depth=1
	global_load_b32 v3, v[0:1], off offset:20 scope:SCOPE_SYS
	s_wait_loadcnt 0x0
	global_inv scope:SCOPE_SYS
	v_and_b32_e32 v3, 1, v3
	s_branch .LBB5_642
.LBB5_647:
	s_and_saveexec_b32 s8, s2
	s_cbranch_execz .LBB5_651
; %bb.648:
	v_mov_b32_e32 v3, 0
	s_clause 0x2
	global_load_b64 v[0:1], v3, s[4:5] offset:40
	global_load_b64 v[10:11], v3, s[4:5] offset:24 scope:SCOPE_SYS
	global_load_b64 v[6:7], v3, s[4:5]
	s_wait_loadcnt 0x2
	v_readfirstlane_b32 s10, v0
	v_readfirstlane_b32 s11, v1
	s_add_nc_u64 s[2:3], s[10:11], 1
	s_wait_alu 0xfffe
	s_add_nc_u64 s[6:7], s[2:3], s[6:7]
	s_wait_alu 0xfffe
	s_cmp_eq_u64 s[6:7], 0
	s_cselect_b32 s3, s3, s7
	s_cselect_b32 s2, s2, s6
	s_wait_alu 0xfffe
	v_mov_b32_e32 v9, s3
	s_and_b64 s[6:7], s[2:3], s[10:11]
	v_mov_b32_e32 v8, s2
	s_wait_alu 0xfffe
	s_mul_u64 s[6:7], s[6:7], 24
	s_wait_loadcnt 0x0
	s_wait_alu 0xfffe
	v_add_co_u32 v0, vcc_lo, v6, s6
	s_wait_alu 0xfffd
	v_add_co_ci_u32_e64 v1, null, s7, v7, vcc_lo
	global_store_b64 v[0:1], v[10:11], off
	global_wb scope:SCOPE_SYS
	s_wait_storecnt 0x0
	global_atomic_cmpswap_b64 v[8:9], v3, v[8:11], s[4:5] offset:24 th:TH_ATOMIC_RETURN scope:SCOPE_SYS
	s_wait_loadcnt 0x0
	v_cmp_ne_u64_e32 vcc_lo, v[8:9], v[10:11]
	s_and_b32 exec_lo, exec_lo, vcc_lo
	s_cbranch_execz .LBB5_651
; %bb.649:
	s_mov_b32 s6, 0
.LBB5_650:                              ; =>This Inner Loop Header: Depth=1
	v_dual_mov_b32 v6, s2 :: v_dual_mov_b32 v7, s3
	s_sleep 1
	global_store_b64 v[0:1], v[8:9], off
	global_wb scope:SCOPE_SYS
	s_wait_storecnt 0x0
	global_atomic_cmpswap_b64 v[6:7], v3, v[6:9], s[4:5] offset:24 th:TH_ATOMIC_RETURN scope:SCOPE_SYS
	s_wait_loadcnt 0x0
	v_cmp_eq_u64_e32 vcc_lo, v[6:7], v[8:9]
	v_dual_mov_b32 v9, v7 :: v_dual_mov_b32 v8, v6
	s_wait_alu 0xfffe
	s_or_b32 s6, vcc_lo, s6
	s_wait_alu 0xfffe
	s_and_not1_b32 exec_lo, exec_lo, s6
	s_cbranch_execnz .LBB5_650
.LBB5_651:
	s_wait_alu 0xfffe
	s_or_b32 exec_lo, exec_lo, s8
	s_load_b64 s[0:1], s[0:1], 0x0
	v_lshlrev_b32_e32 v0, 2, v5
	s_wait_kmcnt 0x0
	global_store_b32 v0, v2, s[0:1]
	s_endpgm
	.section	.rodata,"a",@progbits
	.p2align	6, 0x0
	.amdhsa_kernel _Z32kernel_cg_group_partition_staticILj16EEvPibS0_
		.amdhsa_group_segment_fixed_size 0
		.amdhsa_private_segment_fixed_size 0
		.amdhsa_kernarg_size 280
		.amdhsa_user_sgpr_count 2
		.amdhsa_user_sgpr_dispatch_ptr 0
		.amdhsa_user_sgpr_queue_ptr 0
		.amdhsa_user_sgpr_kernarg_segment_ptr 1
		.amdhsa_user_sgpr_dispatch_id 0
		.amdhsa_user_sgpr_private_segment_size 0
		.amdhsa_wavefront_size32 1
		.amdhsa_uses_dynamic_stack 0
		.amdhsa_enable_private_segment 0
		.amdhsa_system_sgpr_workgroup_id_x 1
		.amdhsa_system_sgpr_workgroup_id_y 0
		.amdhsa_system_sgpr_workgroup_id_z 0
		.amdhsa_system_sgpr_workgroup_info 0
		.amdhsa_system_vgpr_workitem_id 2
		.amdhsa_next_free_vgpr 37
		.amdhsa_next_free_sgpr 28
		.amdhsa_reserve_vcc 1
		.amdhsa_float_round_mode_32 0
		.amdhsa_float_round_mode_16_64 0
		.amdhsa_float_denorm_mode_32 3
		.amdhsa_float_denorm_mode_16_64 3
		.amdhsa_fp16_overflow 0
		.amdhsa_workgroup_processor_mode 1
		.amdhsa_memory_ordered 1
		.amdhsa_forward_progress 1
		.amdhsa_inst_pref_size 255
		.amdhsa_round_robin_scheduling 0
		.amdhsa_exception_fp_ieee_invalid_op 0
		.amdhsa_exception_fp_denorm_src 0
		.amdhsa_exception_fp_ieee_div_zero 0
		.amdhsa_exception_fp_ieee_overflow 0
		.amdhsa_exception_fp_ieee_underflow 0
		.amdhsa_exception_fp_ieee_inexact 0
		.amdhsa_exception_int_div_zero 0
	.end_amdhsa_kernel
	.section	.text._Z32kernel_cg_group_partition_staticILj16EEvPibS0_,"axG",@progbits,_Z32kernel_cg_group_partition_staticILj16EEvPibS0_,comdat
.Lfunc_end5:
	.size	_Z32kernel_cg_group_partition_staticILj16EEvPibS0_, .Lfunc_end5-_Z32kernel_cg_group_partition_staticILj16EEvPibS0_
                                        ; -- End function
	.set _Z32kernel_cg_group_partition_staticILj16EEvPibS0_.num_vgpr, 37
	.set _Z32kernel_cg_group_partition_staticILj16EEvPibS0_.num_agpr, 0
	.set _Z32kernel_cg_group_partition_staticILj16EEvPibS0_.numbered_sgpr, 28
	.set _Z32kernel_cg_group_partition_staticILj16EEvPibS0_.num_named_barrier, 0
	.set _Z32kernel_cg_group_partition_staticILj16EEvPibS0_.private_seg_size, 0
	.set _Z32kernel_cg_group_partition_staticILj16EEvPibS0_.uses_vcc, 1
	.set _Z32kernel_cg_group_partition_staticILj16EEvPibS0_.uses_flat_scratch, 0
	.set _Z32kernel_cg_group_partition_staticILj16EEvPibS0_.has_dyn_sized_stack, 0
	.set _Z32kernel_cg_group_partition_staticILj16EEvPibS0_.has_recursion, 0
	.set _Z32kernel_cg_group_partition_staticILj16EEvPibS0_.has_indirect_call, 0
	.section	.AMDGPU.csdata,"",@progbits
; Kernel info:
; codeLenInByte = 34412
; TotalNumSgprs: 30
; NumVgprs: 37
; ScratchSize: 0
; MemoryBound: 0
; FloatMode: 240
; IeeeMode: 1
; LDSByteSize: 0 bytes/workgroup (compile time only)
; SGPRBlocks: 0
; VGPRBlocks: 4
; NumSGPRsForWavesPerEU: 30
; NumVGPRsForWavesPerEU: 37
; Occupancy: 16
; WaveLimiterHint : 1
; COMPUTE_PGM_RSRC2:SCRATCH_EN: 0
; COMPUTE_PGM_RSRC2:USER_SGPR: 2
; COMPUTE_PGM_RSRC2:TRAP_HANDLER: 0
; COMPUTE_PGM_RSRC2:TGID_X_EN: 1
; COMPUTE_PGM_RSRC2:TGID_Y_EN: 0
; COMPUTE_PGM_RSRC2:TGID_Z_EN: 0
; COMPUTE_PGM_RSRC2:TIDIG_COMP_CNT: 2
	.section	.text._Z32kernel_cg_group_partition_staticILj32EEvPibS0_,"axG",@progbits,_Z32kernel_cg_group_partition_staticILj32EEvPibS0_,comdat
	.protected	_Z32kernel_cg_group_partition_staticILj32EEvPibS0_ ; -- Begin function _Z32kernel_cg_group_partition_staticILj32EEvPibS0_
	.globl	_Z32kernel_cg_group_partition_staticILj32EEvPibS0_
	.p2align	8
	.type	_Z32kernel_cg_group_partition_staticILj32EEvPibS0_,@function
_Z32kernel_cg_group_partition_staticILj32EEvPibS0_: ; @_Z32kernel_cg_group_partition_staticILj32EEvPibS0_
; %bb.0:
	s_mov_b64 s[2:3], src_shared_base
	s_clause 0x1
	s_load_b64 s[4:5], s[0:1], 0x24
	s_load_b32 s2, s[0:1], 0x8
	v_bfe_u32 v1, v0, 10, 10
	v_bfe_u32 v2, v0, 20, 10
	s_load_b64 s[6:7], s[0:1], 0x10
	v_and_b32_e32 v0, 0x3ff, v0
	s_wait_kmcnt 0x0
	s_lshr_b32 s8, s4, 16
	s_and_b32 s4, s4, 0xffff
	v_mad_u32_u24 v1, v2, s8, v1
	s_and_b32 s2, 1, s2
	s_and_b32 s5, s5, 0xffff
	s_cmp_lg_u32 0, -1
	s_mul_i32 s20, s8, s4
	v_mad_co_u64_u32 v[26:27], null, v1, s4, v[0:1]
	s_cselect_b32 s9, 0, 0
	s_cselect_b32 s3, s3, 0
	s_cmp_eq_u32 s2, 1
	s_mul_i32 s20, s20, s5
	s_cselect_b32 s21, s7, s3
	s_wait_alu 0xfffe
	s_cselect_b32 s22, s6, s9
	v_dual_mov_b32 v31, v26 :: v_dual_mov_b32 v34, v26
	s_cmp_lt_u32 s20, 2
	s_mov_b32 s3, 0
	s_cbranch_scc1 .LBB6_6
; %bb.1:
	v_ashrrev_i32_e32 v27, 31, v26
	v_mov_b32_e32 v34, v31
	s_mov_b32 s4, s20
	s_delay_alu instid0(VALU_DEP_2) | instskip(NEXT) | instid1(VALU_DEP_1)
	v_lshlrev_b64_e32 v[0:1], 2, v[26:27]
	v_add_co_u32 v0, vcc_lo, s22, v0
	s_delay_alu instid0(VALU_DEP_1)
	v_add_co_ci_u32_e64 v1, null, s21, v1, vcc_lo
.LBB6_2:                                ; =>This Inner Loop Header: Depth=1
	s_wait_alu 0xfffe
	s_lshr_b32 s2, s4, 1
	s_mov_b32 s5, exec_lo
	flat_store_b32 v[0:1], v34
	s_wait_storecnt_dscnt 0x0
	s_barrier_signal -1
	s_barrier_wait -1
	global_inv scope:SCOPE_SE
	s_wait_alu 0xfffe
	v_cmpx_gt_i32_e64 s2, v26
	s_cbranch_execz .LBB6_4
; %bb.3:                                ;   in Loop: Header=BB6_2 Depth=1
	s_lshl_b64 s[6:7], s[2:3], 2
	s_wait_alu 0xfffe
	v_add_co_u32 v2, vcc_lo, v0, s6
	s_wait_alu 0xfffd
	v_add_co_ci_u32_e64 v3, null, s7, v1, vcc_lo
	flat_load_b32 v2, v[2:3]
	s_wait_loadcnt_dscnt 0x0
	v_add_nc_u32_e32 v34, v2, v34
.LBB6_4:                                ;   in Loop: Header=BB6_2 Depth=1
	s_wait_alu 0xfffe
	s_or_b32 exec_lo, exec_lo, s5
	s_cmp_gt_u32 s4, 3
	s_wait_loadcnt 0x0
	s_barrier_signal -1
	s_barrier_wait -1
	global_inv scope:SCOPE_SE
	s_cbranch_scc0 .LBB6_6
; %bb.5:                                ;   in Loop: Header=BB6_2 Depth=1
	s_mov_b32 s4, s2
	s_branch .LBB6_2
.LBB6_6:
	v_cmp_eq_u32_e64 s2, 0, v26
	s_add_nc_u64 s[4:5], s[0:1], 24
	s_and_saveexec_b32 s23, s2
	s_cbranch_execz .LBB6_400
; %bb.7:
	s_load_b64 s[6:7], s[4:5], 0x50
	v_mbcnt_lo_u32_b32 v33, -1, 0
	v_mov_b32_e32 v6, 0
	v_mov_b32_e32 v7, 0
	s_delay_alu instid0(VALU_DEP_3) | instskip(SKIP_1) | instid1(VALU_DEP_1)
	v_readfirstlane_b32 s3, v33
	s_wait_alu 0xf1ff
	v_cmp_eq_u32_e64 s3, s3, v33
	s_and_saveexec_b32 s8, s3
	s_cbranch_execz .LBB6_13
; %bb.8:
	v_mov_b32_e32 v0, 0
	s_mov_b32 s9, exec_lo
	s_wait_kmcnt 0x0
	global_load_b64 v[3:4], v0, s[6:7] offset:24 scope:SCOPE_SYS
	s_wait_loadcnt 0x0
	global_inv scope:SCOPE_SYS
	s_clause 0x1
	global_load_b64 v[1:2], v0, s[6:7] offset:40
	global_load_b64 v[5:6], v0, s[6:7]
	s_wait_loadcnt 0x1
	v_and_b32_e32 v2, v2, v4
	v_and_b32_e32 v1, v1, v3
	s_delay_alu instid0(VALU_DEP_2) | instskip(NEXT) | instid1(VALU_DEP_2)
	v_mul_lo_u32 v2, 24, v2
	v_mul_lo_u32 v7, 0, v1
	v_mul_hi_u32 v8, 24, v1
	v_mul_lo_u32 v1, 24, v1
	s_delay_alu instid0(VALU_DEP_3) | instskip(SKIP_1) | instid1(VALU_DEP_2)
	v_add_nc_u32_e32 v2, v2, v7
	s_wait_loadcnt 0x0
	v_add_co_u32 v1, vcc_lo, v5, v1
	s_delay_alu instid0(VALU_DEP_2) | instskip(SKIP_1) | instid1(VALU_DEP_1)
	v_add_nc_u32_e32 v2, v2, v8
	s_wait_alu 0xfffd
	v_add_co_ci_u32_e64 v2, null, v6, v2, vcc_lo
	global_load_b64 v[1:2], v[1:2], off scope:SCOPE_SYS
	s_wait_loadcnt 0x0
	global_atomic_cmpswap_b64 v[6:7], v0, v[1:4], s[6:7] offset:24 th:TH_ATOMIC_RETURN scope:SCOPE_SYS
	s_wait_loadcnt 0x0
	global_inv scope:SCOPE_SYS
	v_cmpx_ne_u64_e64 v[6:7], v[3:4]
	s_cbranch_execz .LBB6_12
; %bb.9:
	s_mov_b32 s10, 0
.LBB6_10:                               ; =>This Inner Loop Header: Depth=1
	s_sleep 1
	s_clause 0x1
	global_load_b64 v[1:2], v0, s[6:7] offset:40
	global_load_b64 v[8:9], v0, s[6:7]
	v_dual_mov_b32 v3, v6 :: v_dual_mov_b32 v4, v7
	s_wait_loadcnt 0x1
	s_delay_alu instid0(VALU_DEP_1) | instskip(NEXT) | instid1(VALU_DEP_2)
	v_and_b32_e32 v1, v1, v3
	v_and_b32_e32 v2, v2, v4
	s_wait_loadcnt 0x0
	s_delay_alu instid0(VALU_DEP_2) | instskip(NEXT) | instid1(VALU_DEP_1)
	v_mad_co_u64_u32 v[5:6], null, v1, 24, v[8:9]
	v_mov_b32_e32 v1, v6
	s_delay_alu instid0(VALU_DEP_1) | instskip(NEXT) | instid1(VALU_DEP_1)
	v_mad_co_u64_u32 v[1:2], null, v2, 24, v[1:2]
	v_mov_b32_e32 v6, v1
	global_load_b64 v[1:2], v[5:6], off scope:SCOPE_SYS
	s_wait_loadcnt 0x0
	global_atomic_cmpswap_b64 v[6:7], v0, v[1:4], s[6:7] offset:24 th:TH_ATOMIC_RETURN scope:SCOPE_SYS
	s_wait_loadcnt 0x0
	global_inv scope:SCOPE_SYS
	v_cmp_eq_u64_e32 vcc_lo, v[6:7], v[3:4]
	s_or_b32 s10, vcc_lo, s10
	s_delay_alu instid0(SALU_CYCLE_1)
	s_and_not1_b32 exec_lo, exec_lo, s10
	s_cbranch_execnz .LBB6_10
; %bb.11:
	s_or_b32 exec_lo, exec_lo, s10
.LBB6_12:
	s_wait_alu 0xfffe
	s_or_b32 exec_lo, exec_lo, s9
.LBB6_13:
	s_wait_alu 0xfffe
	s_or_b32 exec_lo, exec_lo, s8
	v_readfirstlane_b32 s8, v6
	v_mov_b32_e32 v5, 0
	v_readfirstlane_b32 s9, v7
	s_mov_b32 s10, exec_lo
	s_wait_kmcnt 0x0
	s_clause 0x1
	global_load_b64 v[8:9], v5, s[6:7] offset:40
	global_load_b128 v[0:3], v5, s[6:7]
	s_wait_loadcnt 0x1
	s_wait_alu 0xf1ff
	v_and_b32_e32 v11, s9, v9
	v_and_b32_e32 v10, s8, v8
	s_delay_alu instid0(VALU_DEP_2) | instskip(NEXT) | instid1(VALU_DEP_2)
	v_mul_lo_u32 v4, 24, v11
	v_mul_lo_u32 v6, 0, v10
	v_mul_hi_u32 v7, 24, v10
	v_mul_lo_u32 v8, 24, v10
	s_delay_alu instid0(VALU_DEP_3) | instskip(SKIP_1) | instid1(VALU_DEP_2)
	v_add_nc_u32_e32 v4, v4, v6
	s_wait_loadcnt 0x0
	v_add_co_u32 v8, vcc_lo, v0, v8
	s_delay_alu instid0(VALU_DEP_2) | instskip(SKIP_1) | instid1(VALU_DEP_1)
	v_add_nc_u32_e32 v4, v4, v7
	s_wait_alu 0xfffd
	v_add_co_ci_u32_e64 v9, null, v1, v4, vcc_lo
	s_and_saveexec_b32 s11, s3
	s_cbranch_execz .LBB6_15
; %bb.14:
	v_dual_mov_b32 v4, s10 :: v_dual_mov_b32 v7, 1
	v_mov_b32_e32 v6, 2
	global_store_b128 v[8:9], v[4:7], off offset:8
.LBB6_15:
	s_or_b32 exec_lo, exec_lo, s11
	v_lshlrev_b64_e32 v[10:11], 12, v[10:11]
	v_dual_mov_b32 v7, v5 :: v_dual_lshlrev_b32 v32, 6, v33
	s_mov_b32 s12, 0
	s_delay_alu instid0(SALU_CYCLE_1) | instskip(NEXT) | instid1(VALU_DEP_2)
	s_mov_b32 s13, s12
	v_add_co_u32 v2, vcc_lo, v2, v10
	s_wait_alu 0xfffd
	v_add_co_ci_u32_e64 v3, null, v3, v11, vcc_lo
	s_mov_b32 s14, s12
	v_add_co_u32 v10, vcc_lo, v2, v32
	s_mov_b32 s15, s12
	v_mov_b32_e32 v4, 33
	v_mov_b32_e32 v6, v5
	v_readfirstlane_b32 s10, v2
	v_readfirstlane_b32 s11, v3
	v_mov_b32_e32 v12, s12
	s_wait_alu 0xfffd
	v_add_co_ci_u32_e64 v11, null, 0, v3, vcc_lo
	v_dual_mov_b32 v13, s13 :: v_dual_mov_b32 v14, s14
	v_mov_b32_e32 v15, s15
	s_clause 0x3
	global_store_b128 v32, v[4:7], s[10:11]
	global_store_b128 v32, v[12:15], s[10:11] offset:16
	global_store_b128 v32, v[12:15], s[10:11] offset:32
	;; [unrolled: 1-line block ×3, first 2 shown]
	s_and_saveexec_b32 s10, s3
	s_cbranch_execz .LBB6_22
; %bb.16:
	v_mov_b32_e32 v6, 0
	s_mov_b32 s11, exec_lo
	s_clause 0x1
	global_load_b64 v[14:15], v6, s[6:7] offset:32 scope:SCOPE_SYS
	global_load_b64 v[2:3], v6, s[6:7] offset:40
	v_dual_mov_b32 v13, s9 :: v_dual_mov_b32 v12, s8
	s_wait_loadcnt 0x0
	v_and_b32_e32 v3, s9, v3
	v_and_b32_e32 v2, s8, v2
	s_delay_alu instid0(VALU_DEP_2) | instskip(NEXT) | instid1(VALU_DEP_2)
	v_mul_lo_u32 v3, 24, v3
	v_mul_lo_u32 v4, 0, v2
	v_mul_hi_u32 v5, 24, v2
	v_mul_lo_u32 v2, 24, v2
	s_delay_alu instid0(VALU_DEP_3) | instskip(NEXT) | instid1(VALU_DEP_2)
	v_add_nc_u32_e32 v3, v3, v4
	v_add_co_u32 v4, vcc_lo, v0, v2
	s_delay_alu instid0(VALU_DEP_2) | instskip(SKIP_1) | instid1(VALU_DEP_1)
	v_add_nc_u32_e32 v3, v3, v5
	s_wait_alu 0xfffd
	v_add_co_ci_u32_e64 v5, null, v1, v3, vcc_lo
	global_store_b64 v[4:5], v[14:15], off
	global_wb scope:SCOPE_SYS
	s_wait_storecnt 0x0
	global_atomic_cmpswap_b64 v[2:3], v6, v[12:15], s[6:7] offset:32 th:TH_ATOMIC_RETURN scope:SCOPE_SYS
	s_wait_loadcnt 0x0
	v_cmpx_ne_u64_e64 v[2:3], v[14:15]
	s_cbranch_execz .LBB6_18
.LBB6_17:                               ; =>This Inner Loop Header: Depth=1
	v_dual_mov_b32 v0, s8 :: v_dual_mov_b32 v1, s9
	s_sleep 1
	global_store_b64 v[4:5], v[2:3], off
	global_wb scope:SCOPE_SYS
	s_wait_storecnt 0x0
	global_atomic_cmpswap_b64 v[0:1], v6, v[0:3], s[6:7] offset:32 th:TH_ATOMIC_RETURN scope:SCOPE_SYS
	s_wait_loadcnt 0x0
	v_cmp_eq_u64_e32 vcc_lo, v[0:1], v[2:3]
	v_dual_mov_b32 v3, v1 :: v_dual_mov_b32 v2, v0
	s_or_b32 s12, vcc_lo, s12
	s_wait_alu 0xfffe
	s_and_not1_b32 exec_lo, exec_lo, s12
	s_cbranch_execnz .LBB6_17
.LBB6_18:
	s_wait_alu 0xfffe
	s_or_b32 exec_lo, exec_lo, s11
	v_mov_b32_e32 v3, 0
	s_mov_b32 s12, exec_lo
	s_mov_b32 s11, exec_lo
	s_wait_alu 0xfffe
	v_mbcnt_lo_u32_b32 v2, s12, 0
	global_load_b64 v[0:1], v3, s[6:7] offset:16
	v_cmpx_eq_u32_e32 0, v2
	s_cbranch_execz .LBB6_20
; %bb.19:
	s_bcnt1_i32_b32 s12, s12
	s_wait_alu 0xfffe
	v_mov_b32_e32 v2, s12
	global_wb scope:SCOPE_SYS
	s_wait_loadcnt 0x0
	s_wait_storecnt 0x0
	global_atomic_add_u64 v[0:1], v[2:3], off offset:8 scope:SCOPE_SYS
.LBB6_20:
	s_or_b32 exec_lo, exec_lo, s11
	s_wait_loadcnt 0x0
	global_load_b64 v[2:3], v[0:1], off offset:16
	s_wait_loadcnt 0x0
	v_cmp_eq_u64_e32 vcc_lo, 0, v[2:3]
	s_cbranch_vccnz .LBB6_22
; %bb.21:
	global_load_b32 v0, v[0:1], off offset:24
	v_mov_b32_e32 v1, 0
	s_wait_loadcnt 0x0
	v_readfirstlane_b32 s11, v0
	global_wb scope:SCOPE_SYS
	s_wait_storecnt 0x0
	global_store_b64 v[2:3], v[0:1], off scope:SCOPE_SYS
	s_and_b32 m0, s11, 0xffffff
	s_sendmsg sendmsg(MSG_INTERRUPT)
.LBB6_22:
	s_wait_alu 0xfffe
	s_or_b32 exec_lo, exec_lo, s10
	s_branch .LBB6_26
.LBB6_23:                               ;   in Loop: Header=BB6_26 Depth=1
	s_wait_alu 0xfffe
	s_or_b32 exec_lo, exec_lo, s10
	s_delay_alu instid0(VALU_DEP_1)
	v_readfirstlane_b32 s10, v0
	s_cmp_eq_u32 s10, 0
	s_cbranch_scc1 .LBB6_25
; %bb.24:                               ;   in Loop: Header=BB6_26 Depth=1
	s_sleep 1
	s_cbranch_execnz .LBB6_26
	s_branch .LBB6_28
.LBB6_25:
	s_branch .LBB6_28
.LBB6_26:                               ; =>This Inner Loop Header: Depth=1
	v_mov_b32_e32 v0, 1
	s_and_saveexec_b32 s10, s3
	s_cbranch_execz .LBB6_23
; %bb.27:                               ;   in Loop: Header=BB6_26 Depth=1
	global_load_b32 v0, v[8:9], off offset:20 scope:SCOPE_SYS
	s_wait_loadcnt 0x0
	global_inv scope:SCOPE_SYS
	v_and_b32_e32 v0, 1, v0
	s_branch .LBB6_23
.LBB6_28:
	global_load_b64 v[0:1], v[10:11], off
	s_and_saveexec_b32 s10, s3
	s_cbranch_execz .LBB6_32
; %bb.29:
	v_mov_b32_e32 v8, 0
	s_clause 0x2
	global_load_b64 v[2:3], v8, s[6:7] offset:40
	global_load_b64 v[11:12], v8, s[6:7] offset:24 scope:SCOPE_SYS
	global_load_b64 v[4:5], v8, s[6:7]
	s_wait_loadcnt 0x2
	v_readfirstlane_b32 s12, v2
	v_readfirstlane_b32 s13, v3
	s_add_nc_u64 s[14:15], s[12:13], 1
	s_wait_alu 0xfffe
	s_add_nc_u64 s[8:9], s[14:15], s[8:9]
	s_wait_alu 0xfffe
	s_cmp_eq_u64 s[8:9], 0
	s_cselect_b32 s9, s15, s9
	s_cselect_b32 s8, s14, s8
	s_wait_alu 0xfffe
	v_mov_b32_e32 v10, s9
	s_and_b64 s[12:13], s[8:9], s[12:13]
	v_mov_b32_e32 v9, s8
	s_wait_alu 0xfffe
	s_mul_u64 s[12:13], s[12:13], 24
	s_wait_loadcnt 0x0
	s_wait_alu 0xfffe
	v_add_co_u32 v6, vcc_lo, v4, s12
	s_wait_alu 0xfffd
	v_add_co_ci_u32_e64 v7, null, s13, v5, vcc_lo
	global_store_b64 v[6:7], v[11:12], off
	global_wb scope:SCOPE_SYS
	s_wait_storecnt 0x0
	global_atomic_cmpswap_b64 v[4:5], v8, v[9:12], s[6:7] offset:24 th:TH_ATOMIC_RETURN scope:SCOPE_SYS
	s_wait_loadcnt 0x0
	v_cmp_ne_u64_e32 vcc_lo, v[4:5], v[11:12]
	s_and_b32 exec_lo, exec_lo, vcc_lo
	s_cbranch_execz .LBB6_32
; %bb.30:
	s_mov_b32 s3, 0
.LBB6_31:                               ; =>This Inner Loop Header: Depth=1
	v_dual_mov_b32 v2, s8 :: v_dual_mov_b32 v3, s9
	s_sleep 1
	global_store_b64 v[6:7], v[4:5], off
	global_wb scope:SCOPE_SYS
	s_wait_storecnt 0x0
	global_atomic_cmpswap_b64 v[2:3], v8, v[2:5], s[6:7] offset:24 th:TH_ATOMIC_RETURN scope:SCOPE_SYS
	s_wait_loadcnt 0x0
	v_cmp_eq_u64_e32 vcc_lo, v[2:3], v[4:5]
	v_dual_mov_b32 v5, v3 :: v_dual_mov_b32 v4, v2
	s_wait_alu 0xfffe
	s_or_b32 s3, vcc_lo, s3
	s_wait_alu 0xfffe
	s_and_not1_b32 exec_lo, exec_lo, s3
	s_cbranch_execnz .LBB6_31
.LBB6_32:
	s_wait_alu 0xfffe
	s_or_b32 exec_lo, exec_lo, s10
	s_getpc_b64 s[8:9]
	s_wait_alu 0xfffe
	s_sext_i32_i16 s9, s9
	s_add_co_u32 s8, s8, .str.8@rel32@lo+12
	s_wait_alu 0xfffe
	s_add_co_ci_u32 s9, s9, .str.8@rel32@hi+24
	s_wait_alu 0xfffe
	s_cmp_lg_u64 s[8:9], 0
	s_cbranch_scc0 .LBB6_111
; %bb.33:
	s_wait_loadcnt 0x0
	v_dual_mov_b32 v8, 2 :: v_dual_and_b32 v35, 2, v0
	v_dual_mov_b32 v7, 0 :: v_dual_and_b32 v2, -3, v0
	v_mov_b32_e32 v3, v1
	v_mov_b32_e32 v9, 1
	s_mov_b64 s[10:11], 0x4d
	s_branch .LBB6_35
.LBB6_34:                               ;   in Loop: Header=BB6_35 Depth=1
	s_wait_alu 0xfffe
	s_or_b32 exec_lo, exec_lo, s16
	s_sub_nc_u64 s[10:11], s[10:11], s[12:13]
	s_add_nc_u64 s[8:9], s[8:9], s[12:13]
	s_wait_alu 0xfffe
	s_cmp_lg_u64 s[10:11], 0
	s_cbranch_scc0 .LBB6_110
.LBB6_35:                               ; =>This Loop Header: Depth=1
                                        ;     Child Loop BB6_38 Depth 2
                                        ;     Child Loop BB6_45 Depth 2
	;; [unrolled: 1-line block ×11, first 2 shown]
	s_wait_alu 0xfffe
	v_cmp_lt_u64_e64 s3, s[10:11], 56
	v_cmp_gt_u64_e64 s14, s[10:11], 7
	s_and_b32 s3, s3, exec_lo
	s_cselect_b32 s13, s11, 0
	s_cselect_b32 s12, s10, 56
	s_and_b32 vcc_lo, exec_lo, s14
	s_wait_alu 0xfffe
	s_cbranch_vccnz .LBB6_40
; %bb.36:                               ;   in Loop: Header=BB6_35 Depth=1
	v_mov_b32_e32 v4, 0
	v_mov_b32_e32 v5, 0
	s_cmp_eq_u64 s[10:11], 0
	s_cbranch_scc1 .LBB6_39
; %bb.37:                               ;   in Loop: Header=BB6_35 Depth=1
	s_mov_b64 s[14:15], 0
	s_mov_b64 s[16:17], 0
.LBB6_38:                               ;   Parent Loop BB6_35 Depth=1
                                        ; =>  This Inner Loop Header: Depth=2
	s_wait_alu 0xfffe
	s_add_nc_u64 s[18:19], s[8:9], s[16:17]
	s_add_nc_u64 s[16:17], s[16:17], 1
	global_load_u8 v6, v7, s[18:19]
	s_wait_alu 0xfffe
	s_cmp_lg_u32 s12, s16
	s_wait_loadcnt 0x0
	v_and_b32_e32 v6, 0xffff, v6
	s_delay_alu instid0(VALU_DEP_1) | instskip(SKIP_1) | instid1(VALU_DEP_1)
	v_lshlrev_b64_e32 v[10:11], s14, v[6:7]
	s_add_nc_u64 s[14:15], s[14:15], 8
	v_or_b32_e32 v4, v10, v4
	s_delay_alu instid0(VALU_DEP_2)
	v_or_b32_e32 v5, v11, v5
	s_cbranch_scc1 .LBB6_38
.LBB6_39:                               ;   in Loop: Header=BB6_35 Depth=1
	s_mov_b64 s[16:17], s[8:9]
	s_mov_b32 s3, 0
	s_cbranch_execz .LBB6_41
	s_branch .LBB6_42
.LBB6_40:                               ;   in Loop: Header=BB6_35 Depth=1
	s_add_nc_u64 s[16:17], s[8:9], 8
	s_mov_b32 s3, 0
.LBB6_41:                               ;   in Loop: Header=BB6_35 Depth=1
	global_load_b64 v[4:5], v7, s[8:9]
	s_add_co_i32 s3, s12, -8
.LBB6_42:                               ;   in Loop: Header=BB6_35 Depth=1
	s_wait_alu 0xfffe
	s_cmp_gt_u32 s3, 7
	s_cbranch_scc1 .LBB6_47
; %bb.43:                               ;   in Loop: Header=BB6_35 Depth=1
	v_mov_b32_e32 v10, 0
	v_mov_b32_e32 v11, 0
	s_cmp_eq_u32 s3, 0
	s_cbranch_scc1 .LBB6_46
; %bb.44:                               ;   in Loop: Header=BB6_35 Depth=1
	s_mov_b64 s[14:15], 0
	s_mov_b64 s[18:19], 0
.LBB6_45:                               ;   Parent Loop BB6_35 Depth=1
                                        ; =>  This Inner Loop Header: Depth=2
	s_wait_alu 0xfffe
	s_add_nc_u64 s[24:25], s[16:17], s[18:19]
	s_add_nc_u64 s[18:19], s[18:19], 1
	global_load_u8 v6, v7, s[24:25]
	s_wait_alu 0xfffe
	s_cmp_lg_u32 s3, s18
	s_wait_loadcnt 0x0
	v_and_b32_e32 v6, 0xffff, v6
	s_delay_alu instid0(VALU_DEP_1) | instskip(SKIP_1) | instid1(VALU_DEP_1)
	v_lshlrev_b64_e32 v[12:13], s14, v[6:7]
	s_add_nc_u64 s[14:15], s[14:15], 8
	v_or_b32_e32 v10, v12, v10
	s_delay_alu instid0(VALU_DEP_2)
	v_or_b32_e32 v11, v13, v11
	s_cbranch_scc1 .LBB6_45
.LBB6_46:                               ;   in Loop: Header=BB6_35 Depth=1
	s_mov_b64 s[14:15], s[16:17]
	s_mov_b32 s24, 0
	s_cbranch_execz .LBB6_48
	s_branch .LBB6_49
.LBB6_47:                               ;   in Loop: Header=BB6_35 Depth=1
	s_add_nc_u64 s[14:15], s[16:17], 8
                                        ; implicit-def: $vgpr10_vgpr11
	s_mov_b32 s24, 0
.LBB6_48:                               ;   in Loop: Header=BB6_35 Depth=1
	global_load_b64 v[10:11], v7, s[16:17]
	s_add_co_i32 s24, s3, -8
.LBB6_49:                               ;   in Loop: Header=BB6_35 Depth=1
	s_delay_alu instid0(SALU_CYCLE_1)
	s_cmp_gt_u32 s24, 7
	s_cbranch_scc1 .LBB6_54
; %bb.50:                               ;   in Loop: Header=BB6_35 Depth=1
	v_mov_b32_e32 v12, 0
	v_mov_b32_e32 v13, 0
	s_cmp_eq_u32 s24, 0
	s_cbranch_scc1 .LBB6_53
; %bb.51:                               ;   in Loop: Header=BB6_35 Depth=1
	s_mov_b64 s[16:17], 0
	s_mov_b64 s[18:19], 0
.LBB6_52:                               ;   Parent Loop BB6_35 Depth=1
                                        ; =>  This Inner Loop Header: Depth=2
	s_wait_alu 0xfffe
	s_add_nc_u64 s[26:27], s[14:15], s[18:19]
	s_add_nc_u64 s[18:19], s[18:19], 1
	global_load_u8 v6, v7, s[26:27]
	s_wait_alu 0xfffe
	s_cmp_lg_u32 s24, s18
	s_wait_loadcnt 0x0
	v_and_b32_e32 v6, 0xffff, v6
	s_delay_alu instid0(VALU_DEP_1) | instskip(SKIP_1) | instid1(VALU_DEP_1)
	v_lshlrev_b64_e32 v[14:15], s16, v[6:7]
	s_add_nc_u64 s[16:17], s[16:17], 8
	v_or_b32_e32 v12, v14, v12
	s_delay_alu instid0(VALU_DEP_2)
	v_or_b32_e32 v13, v15, v13
	s_cbranch_scc1 .LBB6_52
.LBB6_53:                               ;   in Loop: Header=BB6_35 Depth=1
	s_wait_alu 0xfffe
	s_mov_b64 s[16:17], s[14:15]
	s_mov_b32 s3, 0
	s_cbranch_execz .LBB6_55
	s_branch .LBB6_56
.LBB6_54:                               ;   in Loop: Header=BB6_35 Depth=1
	s_wait_alu 0xfffe
	s_add_nc_u64 s[16:17], s[14:15], 8
	s_mov_b32 s3, 0
.LBB6_55:                               ;   in Loop: Header=BB6_35 Depth=1
	global_load_b64 v[12:13], v7, s[14:15]
	s_add_co_i32 s3, s24, -8
.LBB6_56:                               ;   in Loop: Header=BB6_35 Depth=1
	s_wait_alu 0xfffe
	s_cmp_gt_u32 s3, 7
	s_cbranch_scc1 .LBB6_61
; %bb.57:                               ;   in Loop: Header=BB6_35 Depth=1
	v_mov_b32_e32 v14, 0
	v_mov_b32_e32 v15, 0
	s_cmp_eq_u32 s3, 0
	s_cbranch_scc1 .LBB6_60
; %bb.58:                               ;   in Loop: Header=BB6_35 Depth=1
	s_mov_b64 s[14:15], 0
	s_mov_b64 s[18:19], 0
.LBB6_59:                               ;   Parent Loop BB6_35 Depth=1
                                        ; =>  This Inner Loop Header: Depth=2
	s_wait_alu 0xfffe
	s_add_nc_u64 s[24:25], s[16:17], s[18:19]
	s_add_nc_u64 s[18:19], s[18:19], 1
	global_load_u8 v6, v7, s[24:25]
	s_wait_alu 0xfffe
	s_cmp_lg_u32 s3, s18
	s_wait_loadcnt 0x0
	v_and_b32_e32 v6, 0xffff, v6
	s_delay_alu instid0(VALU_DEP_1) | instskip(SKIP_1) | instid1(VALU_DEP_1)
	v_lshlrev_b64_e32 v[16:17], s14, v[6:7]
	s_add_nc_u64 s[14:15], s[14:15], 8
	v_or_b32_e32 v14, v16, v14
	s_delay_alu instid0(VALU_DEP_2)
	v_or_b32_e32 v15, v17, v15
	s_cbranch_scc1 .LBB6_59
.LBB6_60:                               ;   in Loop: Header=BB6_35 Depth=1
	s_mov_b64 s[14:15], s[16:17]
	s_mov_b32 s24, 0
	s_cbranch_execz .LBB6_62
	s_branch .LBB6_63
.LBB6_61:                               ;   in Loop: Header=BB6_35 Depth=1
	s_add_nc_u64 s[14:15], s[16:17], 8
                                        ; implicit-def: $vgpr14_vgpr15
	s_mov_b32 s24, 0
.LBB6_62:                               ;   in Loop: Header=BB6_35 Depth=1
	global_load_b64 v[14:15], v7, s[16:17]
	s_add_co_i32 s24, s3, -8
.LBB6_63:                               ;   in Loop: Header=BB6_35 Depth=1
	s_delay_alu instid0(SALU_CYCLE_1)
	s_cmp_gt_u32 s24, 7
	s_cbranch_scc1 .LBB6_68
; %bb.64:                               ;   in Loop: Header=BB6_35 Depth=1
	v_mov_b32_e32 v16, 0
	v_mov_b32_e32 v17, 0
	s_cmp_eq_u32 s24, 0
	s_cbranch_scc1 .LBB6_67
; %bb.65:                               ;   in Loop: Header=BB6_35 Depth=1
	s_mov_b64 s[16:17], 0
	s_mov_b64 s[18:19], 0
.LBB6_66:                               ;   Parent Loop BB6_35 Depth=1
                                        ; =>  This Inner Loop Header: Depth=2
	s_wait_alu 0xfffe
	s_add_nc_u64 s[26:27], s[14:15], s[18:19]
	s_add_nc_u64 s[18:19], s[18:19], 1
	global_load_u8 v6, v7, s[26:27]
	s_wait_alu 0xfffe
	s_cmp_lg_u32 s24, s18
	s_wait_loadcnt 0x0
	v_and_b32_e32 v6, 0xffff, v6
	s_delay_alu instid0(VALU_DEP_1) | instskip(SKIP_1) | instid1(VALU_DEP_1)
	v_lshlrev_b64_e32 v[18:19], s16, v[6:7]
	s_add_nc_u64 s[16:17], s[16:17], 8
	v_or_b32_e32 v16, v18, v16
	s_delay_alu instid0(VALU_DEP_2)
	v_or_b32_e32 v17, v19, v17
	s_cbranch_scc1 .LBB6_66
.LBB6_67:                               ;   in Loop: Header=BB6_35 Depth=1
	s_wait_alu 0xfffe
	s_mov_b64 s[16:17], s[14:15]
	s_mov_b32 s3, 0
	s_cbranch_execz .LBB6_69
	s_branch .LBB6_70
.LBB6_68:                               ;   in Loop: Header=BB6_35 Depth=1
	s_wait_alu 0xfffe
	s_add_nc_u64 s[16:17], s[14:15], 8
	s_mov_b32 s3, 0
.LBB6_69:                               ;   in Loop: Header=BB6_35 Depth=1
	global_load_b64 v[16:17], v7, s[14:15]
	s_add_co_i32 s3, s24, -8
.LBB6_70:                               ;   in Loop: Header=BB6_35 Depth=1
	s_wait_alu 0xfffe
	s_cmp_gt_u32 s3, 7
	s_cbranch_scc1 .LBB6_75
; %bb.71:                               ;   in Loop: Header=BB6_35 Depth=1
	v_mov_b32_e32 v18, 0
	v_mov_b32_e32 v19, 0
	s_cmp_eq_u32 s3, 0
	s_cbranch_scc1 .LBB6_74
; %bb.72:                               ;   in Loop: Header=BB6_35 Depth=1
	s_mov_b64 s[14:15], 0
	s_mov_b64 s[18:19], 0
.LBB6_73:                               ;   Parent Loop BB6_35 Depth=1
                                        ; =>  This Inner Loop Header: Depth=2
	s_wait_alu 0xfffe
	s_add_nc_u64 s[24:25], s[16:17], s[18:19]
	s_add_nc_u64 s[18:19], s[18:19], 1
	global_load_u8 v6, v7, s[24:25]
	s_wait_alu 0xfffe
	s_cmp_lg_u32 s3, s18
	s_wait_loadcnt 0x0
	v_and_b32_e32 v6, 0xffff, v6
	s_delay_alu instid0(VALU_DEP_1) | instskip(SKIP_1) | instid1(VALU_DEP_1)
	v_lshlrev_b64_e32 v[20:21], s14, v[6:7]
	s_add_nc_u64 s[14:15], s[14:15], 8
	v_or_b32_e32 v18, v20, v18
	s_delay_alu instid0(VALU_DEP_2)
	v_or_b32_e32 v19, v21, v19
	s_cbranch_scc1 .LBB6_73
.LBB6_74:                               ;   in Loop: Header=BB6_35 Depth=1
	s_mov_b64 s[14:15], s[16:17]
	s_mov_b32 s24, 0
	s_cbranch_execz .LBB6_76
	s_branch .LBB6_77
.LBB6_75:                               ;   in Loop: Header=BB6_35 Depth=1
	s_add_nc_u64 s[14:15], s[16:17], 8
                                        ; implicit-def: $vgpr18_vgpr19
	s_mov_b32 s24, 0
.LBB6_76:                               ;   in Loop: Header=BB6_35 Depth=1
	global_load_b64 v[18:19], v7, s[16:17]
	s_add_co_i32 s24, s3, -8
.LBB6_77:                               ;   in Loop: Header=BB6_35 Depth=1
	s_delay_alu instid0(SALU_CYCLE_1)
	s_cmp_gt_u32 s24, 7
	s_cbranch_scc1 .LBB6_82
; %bb.78:                               ;   in Loop: Header=BB6_35 Depth=1
	v_mov_b32_e32 v20, 0
	v_mov_b32_e32 v21, 0
	s_cmp_eq_u32 s24, 0
	s_cbranch_scc1 .LBB6_81
; %bb.79:                               ;   in Loop: Header=BB6_35 Depth=1
	s_mov_b64 s[16:17], 0
	s_wait_alu 0xfffe
	s_mov_b64 s[18:19], s[14:15]
.LBB6_80:                               ;   Parent Loop BB6_35 Depth=1
                                        ; =>  This Inner Loop Header: Depth=2
	global_load_u8 v6, v7, s[18:19]
	s_add_co_i32 s24, s24, -1
	s_wait_alu 0xfffe
	s_add_nc_u64 s[18:19], s[18:19], 1
	s_cmp_lg_u32 s24, 0
	s_wait_loadcnt 0x0
	v_and_b32_e32 v6, 0xffff, v6
	s_delay_alu instid0(VALU_DEP_1) | instskip(SKIP_1) | instid1(VALU_DEP_1)
	v_lshlrev_b64_e32 v[22:23], s16, v[6:7]
	s_add_nc_u64 s[16:17], s[16:17], 8
	v_or_b32_e32 v20, v22, v20
	s_delay_alu instid0(VALU_DEP_2)
	v_or_b32_e32 v21, v23, v21
	s_cbranch_scc1 .LBB6_80
.LBB6_81:                               ;   in Loop: Header=BB6_35 Depth=1
	s_cbranch_execz .LBB6_83
	s_branch .LBB6_84
.LBB6_82:                               ;   in Loop: Header=BB6_35 Depth=1
.LBB6_83:                               ;   in Loop: Header=BB6_35 Depth=1
	global_load_b64 v[20:21], v7, s[14:15]
.LBB6_84:                               ;   in Loop: Header=BB6_35 Depth=1
	v_readfirstlane_b32 s3, v33
	v_mov_b32_e32 v27, 0
	v_mov_b32_e32 v28, 0
	s_wait_alu 0xf1ff
	s_delay_alu instid0(VALU_DEP_3)
	v_cmp_eq_u32_e64 s3, s3, v33
	s_and_saveexec_b32 s14, s3
	s_cbranch_execz .LBB6_90
; %bb.85:                               ;   in Loop: Header=BB6_35 Depth=1
	global_load_b64 v[24:25], v7, s[6:7] offset:24 scope:SCOPE_SYS
	s_wait_loadcnt 0x0
	global_inv scope:SCOPE_SYS
	s_clause 0x1
	global_load_b64 v[22:23], v7, s[6:7] offset:40
	global_load_b64 v[27:28], v7, s[6:7]
	s_mov_b32 s15, exec_lo
	s_wait_loadcnt 0x1
	v_and_b32_e32 v6, v23, v25
	v_and_b32_e32 v22, v22, v24
	s_delay_alu instid0(VALU_DEP_2) | instskip(NEXT) | instid1(VALU_DEP_2)
	v_mul_lo_u32 v6, 24, v6
	v_mul_lo_u32 v23, 0, v22
	v_mul_hi_u32 v29, 24, v22
	v_mul_lo_u32 v22, 24, v22
	s_delay_alu instid0(VALU_DEP_3) | instskip(SKIP_1) | instid1(VALU_DEP_2)
	v_add_nc_u32_e32 v6, v6, v23
	s_wait_loadcnt 0x0
	v_add_co_u32 v22, vcc_lo, v27, v22
	s_delay_alu instid0(VALU_DEP_2) | instskip(SKIP_1) | instid1(VALU_DEP_1)
	v_add_nc_u32_e32 v6, v6, v29
	s_wait_alu 0xfffd
	v_add_co_ci_u32_e64 v23, null, v28, v6, vcc_lo
	global_load_b64 v[22:23], v[22:23], off scope:SCOPE_SYS
	s_wait_loadcnt 0x0
	global_atomic_cmpswap_b64 v[27:28], v7, v[22:25], s[6:7] offset:24 th:TH_ATOMIC_RETURN scope:SCOPE_SYS
	s_wait_loadcnt 0x0
	global_inv scope:SCOPE_SYS
	v_cmpx_ne_u64_e64 v[27:28], v[24:25]
	s_cbranch_execz .LBB6_89
; %bb.86:                               ;   in Loop: Header=BB6_35 Depth=1
	s_mov_b32 s16, 0
.LBB6_87:                               ;   Parent Loop BB6_35 Depth=1
                                        ; =>  This Inner Loop Header: Depth=2
	s_sleep 1
	s_clause 0x1
	global_load_b64 v[22:23], v7, s[6:7] offset:40
	global_load_b64 v[29:30], v7, s[6:7]
	v_dual_mov_b32 v24, v27 :: v_dual_mov_b32 v25, v28
	s_wait_loadcnt 0x1
	s_delay_alu instid0(VALU_DEP_1) | instskip(NEXT) | instid1(VALU_DEP_2)
	v_and_b32_e32 v6, v22, v24
	v_and_b32_e32 v22, v23, v25
	s_wait_loadcnt 0x0
	s_delay_alu instid0(VALU_DEP_2) | instskip(NEXT) | instid1(VALU_DEP_1)
	v_mad_co_u64_u32 v[27:28], null, v6, 24, v[29:30]
	v_mov_b32_e32 v6, v28
	s_delay_alu instid0(VALU_DEP_1) | instskip(NEXT) | instid1(VALU_DEP_1)
	v_mad_co_u64_u32 v[22:23], null, v22, 24, v[6:7]
	v_mov_b32_e32 v28, v22
	global_load_b64 v[22:23], v[27:28], off scope:SCOPE_SYS
	s_wait_loadcnt 0x0
	global_atomic_cmpswap_b64 v[27:28], v7, v[22:25], s[6:7] offset:24 th:TH_ATOMIC_RETURN scope:SCOPE_SYS
	s_wait_loadcnt 0x0
	global_inv scope:SCOPE_SYS
	v_cmp_eq_u64_e32 vcc_lo, v[27:28], v[24:25]
	s_wait_alu 0xfffe
	s_or_b32 s16, vcc_lo, s16
	s_wait_alu 0xfffe
	s_and_not1_b32 exec_lo, exec_lo, s16
	s_cbranch_execnz .LBB6_87
; %bb.88:                               ;   in Loop: Header=BB6_35 Depth=1
	s_or_b32 exec_lo, exec_lo, s16
.LBB6_89:                               ;   in Loop: Header=BB6_35 Depth=1
	s_wait_alu 0xfffe
	s_or_b32 exec_lo, exec_lo, s15
.LBB6_90:                               ;   in Loop: Header=BB6_35 Depth=1
	s_wait_alu 0xfffe
	s_or_b32 exec_lo, exec_lo, s14
	s_clause 0x1
	global_load_b64 v[29:30], v7, s[6:7] offset:40
	global_load_b128 v[22:25], v7, s[6:7]
	v_readfirstlane_b32 s15, v28
	v_readfirstlane_b32 s14, v27
	s_mov_b32 s16, exec_lo
	s_wait_loadcnt 0x1
	s_wait_alu 0xf1ff
	v_and_b32_e32 v30, s15, v30
	v_and_b32_e32 v29, s14, v29
	s_delay_alu instid0(VALU_DEP_2) | instskip(NEXT) | instid1(VALU_DEP_2)
	v_mul_lo_u32 v6, 24, v30
	v_mul_lo_u32 v27, 0, v29
	v_mul_hi_u32 v28, 24, v29
	v_mul_lo_u32 v36, 24, v29
	s_delay_alu instid0(VALU_DEP_3) | instskip(SKIP_1) | instid1(VALU_DEP_2)
	v_add_nc_u32_e32 v6, v6, v27
	s_wait_loadcnt 0x0
	v_add_co_u32 v27, vcc_lo, v22, v36
	s_delay_alu instid0(VALU_DEP_2) | instskip(SKIP_1) | instid1(VALU_DEP_1)
	v_add_nc_u32_e32 v6, v6, v28
	s_wait_alu 0xfffd
	v_add_co_ci_u32_e64 v28, null, v23, v6, vcc_lo
	s_and_saveexec_b32 s17, s3
	s_cbranch_execz .LBB6_92
; %bb.91:                               ;   in Loop: Header=BB6_35 Depth=1
	s_wait_alu 0xfffe
	v_mov_b32_e32 v6, s16
	global_store_b128 v[27:28], v[6:9], off offset:8
.LBB6_92:                               ;   in Loop: Header=BB6_35 Depth=1
	s_wait_alu 0xfffe
	s_or_b32 exec_lo, exec_lo, s17
	v_cmp_lt_u64_e64 vcc_lo, s[10:11], 57
	v_lshlrev_b64_e32 v[29:30], 12, v[29:30]
	v_and_b32_e32 v2, 0xffffff1f, v2
	s_lshl_b32 s16, s12, 2
	s_wait_alu 0xfffe
	s_add_co_i32 s16, s16, 28
	s_wait_alu 0xfffd
	v_cndmask_b32_e32 v6, 0, v35, vcc_lo
	v_add_co_u32 v24, vcc_lo, v24, v29
	s_wait_alu 0xfffd
	v_add_co_ci_u32_e64 v25, null, v25, v30, vcc_lo
	s_delay_alu instid0(VALU_DEP_3) | instskip(NEXT) | instid1(VALU_DEP_2)
	v_or_b32_e32 v2, v2, v6
	v_readfirstlane_b32 s17, v25
	s_wait_alu 0xfffe
	s_delay_alu instid0(VALU_DEP_2)
	v_and_or_b32 v2, 0x1e0, s16, v2
	v_readfirstlane_b32 s16, v24
	s_clause 0x3
	global_store_b128 v32, v[2:5], s[16:17]
	global_store_b128 v32, v[10:13], s[16:17] offset:16
	global_store_b128 v32, v[14:17], s[16:17] offset:32
	;; [unrolled: 1-line block ×3, first 2 shown]
	s_and_saveexec_b32 s16, s3
	s_cbranch_execz .LBB6_100
; %bb.93:                               ;   in Loop: Header=BB6_35 Depth=1
	s_clause 0x1
	global_load_b64 v[14:15], v7, s[6:7] offset:32 scope:SCOPE_SYS
	global_load_b64 v[2:3], v7, s[6:7] offset:40
	s_mov_b32 s17, exec_lo
	v_dual_mov_b32 v12, s14 :: v_dual_mov_b32 v13, s15
	s_wait_loadcnt 0x0
	v_and_b32_e32 v2, s14, v2
	v_and_b32_e32 v3, s15, v3
	s_delay_alu instid0(VALU_DEP_2) | instskip(NEXT) | instid1(VALU_DEP_2)
	v_mul_lo_u32 v4, 0, v2
	v_mul_lo_u32 v3, 24, v3
	v_mul_hi_u32 v5, 24, v2
	v_mul_lo_u32 v2, 24, v2
	s_delay_alu instid0(VALU_DEP_3) | instskip(NEXT) | instid1(VALU_DEP_2)
	v_add_nc_u32_e32 v3, v3, v4
	v_add_co_u32 v10, vcc_lo, v22, v2
	s_delay_alu instid0(VALU_DEP_2) | instskip(SKIP_1) | instid1(VALU_DEP_1)
	v_add_nc_u32_e32 v3, v3, v5
	s_wait_alu 0xfffd
	v_add_co_ci_u32_e64 v11, null, v23, v3, vcc_lo
	global_store_b64 v[10:11], v[14:15], off
	global_wb scope:SCOPE_SYS
	s_wait_storecnt 0x0
	global_atomic_cmpswap_b64 v[4:5], v7, v[12:15], s[6:7] offset:32 th:TH_ATOMIC_RETURN scope:SCOPE_SYS
	s_wait_loadcnt 0x0
	v_cmpx_ne_u64_e64 v[4:5], v[14:15]
	s_cbranch_execz .LBB6_96
; %bb.94:                               ;   in Loop: Header=BB6_35 Depth=1
	s_mov_b32 s18, 0
.LBB6_95:                               ;   Parent Loop BB6_35 Depth=1
                                        ; =>  This Inner Loop Header: Depth=2
	v_dual_mov_b32 v2, s14 :: v_dual_mov_b32 v3, s15
	s_sleep 1
	global_store_b64 v[10:11], v[4:5], off
	global_wb scope:SCOPE_SYS
	s_wait_storecnt 0x0
	global_atomic_cmpswap_b64 v[2:3], v7, v[2:5], s[6:7] offset:32 th:TH_ATOMIC_RETURN scope:SCOPE_SYS
	s_wait_loadcnt 0x0
	v_cmp_eq_u64_e32 vcc_lo, v[2:3], v[4:5]
	v_dual_mov_b32 v5, v3 :: v_dual_mov_b32 v4, v2
	s_wait_alu 0xfffe
	s_or_b32 s18, vcc_lo, s18
	s_wait_alu 0xfffe
	s_and_not1_b32 exec_lo, exec_lo, s18
	s_cbranch_execnz .LBB6_95
.LBB6_96:                               ;   in Loop: Header=BB6_35 Depth=1
	s_wait_alu 0xfffe
	s_or_b32 exec_lo, exec_lo, s17
	global_load_b64 v[2:3], v7, s[6:7] offset:16
	s_mov_b32 s18, exec_lo
	s_mov_b32 s17, exec_lo
	s_wait_alu 0xfffe
	v_mbcnt_lo_u32_b32 v4, s18, 0
	s_delay_alu instid0(VALU_DEP_1)
	v_cmpx_eq_u32_e32 0, v4
	s_cbranch_execz .LBB6_98
; %bb.97:                               ;   in Loop: Header=BB6_35 Depth=1
	s_bcnt1_i32_b32 s18, s18
	s_wait_alu 0xfffe
	v_mov_b32_e32 v6, s18
	global_wb scope:SCOPE_SYS
	s_wait_loadcnt 0x0
	s_wait_storecnt 0x0
	global_atomic_add_u64 v[2:3], v[6:7], off offset:8 scope:SCOPE_SYS
.LBB6_98:                               ;   in Loop: Header=BB6_35 Depth=1
	s_wait_alu 0xfffe
	s_or_b32 exec_lo, exec_lo, s17
	s_wait_loadcnt 0x0
	global_load_b64 v[4:5], v[2:3], off offset:16
	s_wait_loadcnt 0x0
	v_cmp_eq_u64_e32 vcc_lo, 0, v[4:5]
	s_cbranch_vccnz .LBB6_100
; %bb.99:                               ;   in Loop: Header=BB6_35 Depth=1
	global_load_b32 v6, v[2:3], off offset:24
	s_wait_loadcnt 0x0
	v_readfirstlane_b32 s17, v6
	global_wb scope:SCOPE_SYS
	s_wait_storecnt 0x0
	global_store_b64 v[4:5], v[6:7], off scope:SCOPE_SYS
	s_and_b32 m0, s17, 0xffffff
	s_sendmsg sendmsg(MSG_INTERRUPT)
.LBB6_100:                              ;   in Loop: Header=BB6_35 Depth=1
	s_wait_alu 0xfffe
	s_or_b32 exec_lo, exec_lo, s16
	v_add_co_u32 v2, vcc_lo, v24, v32
	s_wait_alu 0xfffd
	v_add_co_ci_u32_e64 v3, null, 0, v25, vcc_lo
	s_branch .LBB6_104
.LBB6_101:                              ;   in Loop: Header=BB6_104 Depth=2
	s_wait_alu 0xfffe
	s_or_b32 exec_lo, exec_lo, s16
	s_delay_alu instid0(VALU_DEP_1)
	v_readfirstlane_b32 s16, v4
	s_cmp_eq_u32 s16, 0
	s_cbranch_scc1 .LBB6_103
; %bb.102:                              ;   in Loop: Header=BB6_104 Depth=2
	s_sleep 1
	s_cbranch_execnz .LBB6_104
	s_branch .LBB6_106
.LBB6_103:                              ;   in Loop: Header=BB6_35 Depth=1
	s_branch .LBB6_106
.LBB6_104:                              ;   Parent Loop BB6_35 Depth=1
                                        ; =>  This Inner Loop Header: Depth=2
	v_mov_b32_e32 v4, 1
	s_and_saveexec_b32 s16, s3
	s_cbranch_execz .LBB6_101
; %bb.105:                              ;   in Loop: Header=BB6_104 Depth=2
	global_load_b32 v4, v[27:28], off offset:20 scope:SCOPE_SYS
	s_wait_loadcnt 0x0
	global_inv scope:SCOPE_SYS
	v_and_b32_e32 v4, 1, v4
	s_branch .LBB6_101
.LBB6_106:                              ;   in Loop: Header=BB6_35 Depth=1
	global_load_b64 v[2:3], v[2:3], off
	s_and_saveexec_b32 s16, s3
	s_cbranch_execz .LBB6_34
; %bb.107:                              ;   in Loop: Header=BB6_35 Depth=1
	s_clause 0x2
	global_load_b64 v[4:5], v7, s[6:7] offset:40
	global_load_b64 v[14:15], v7, s[6:7] offset:24 scope:SCOPE_SYS
	global_load_b64 v[10:11], v7, s[6:7]
	s_wait_loadcnt 0x2
	v_readfirstlane_b32 s18, v4
	v_readfirstlane_b32 s19, v5
	s_add_nc_u64 s[24:25], s[18:19], 1
	s_delay_alu instid0(SALU_CYCLE_1)
	s_add_nc_u64 s[14:15], s[24:25], s[14:15]
	s_wait_alu 0xfffe
	s_cmp_eq_u64 s[14:15], 0
	s_cselect_b32 s15, s25, s15
	s_cselect_b32 s14, s24, s14
	s_wait_alu 0xfffe
	v_dual_mov_b32 v13, s15 :: v_dual_mov_b32 v12, s14
	s_and_b64 s[18:19], s[14:15], s[18:19]
	s_wait_alu 0xfffe
	s_mul_u64 s[18:19], s[18:19], 24
	s_wait_loadcnt 0x0
	s_wait_alu 0xfffe
	v_add_co_u32 v4, vcc_lo, v10, s18
	s_wait_alu 0xfffd
	v_add_co_ci_u32_e64 v5, null, s19, v11, vcc_lo
	global_store_b64 v[4:5], v[14:15], off
	global_wb scope:SCOPE_SYS
	s_wait_storecnt 0x0
	global_atomic_cmpswap_b64 v[12:13], v7, v[12:15], s[6:7] offset:24 th:TH_ATOMIC_RETURN scope:SCOPE_SYS
	s_wait_loadcnt 0x0
	v_cmp_ne_u64_e32 vcc_lo, v[12:13], v[14:15]
	s_and_b32 exec_lo, exec_lo, vcc_lo
	s_cbranch_execz .LBB6_34
; %bb.108:                              ;   in Loop: Header=BB6_35 Depth=1
	s_mov_b32 s3, 0
.LBB6_109:                              ;   Parent Loop BB6_35 Depth=1
                                        ; =>  This Inner Loop Header: Depth=2
	v_dual_mov_b32 v10, s14 :: v_dual_mov_b32 v11, s15
	s_sleep 1
	global_store_b64 v[4:5], v[12:13], off
	global_wb scope:SCOPE_SYS
	s_wait_storecnt 0x0
	global_atomic_cmpswap_b64 v[10:11], v7, v[10:13], s[6:7] offset:24 th:TH_ATOMIC_RETURN scope:SCOPE_SYS
	s_wait_loadcnt 0x0
	v_cmp_eq_u64_e32 vcc_lo, v[10:11], v[12:13]
	v_dual_mov_b32 v13, v11 :: v_dual_mov_b32 v12, v10
	s_wait_alu 0xfffe
	s_or_b32 s3, vcc_lo, s3
	s_wait_alu 0xfffe
	s_and_not1_b32 exec_lo, exec_lo, s3
	s_cbranch_execnz .LBB6_109
	s_branch .LBB6_34
.LBB6_110:
	s_branch .LBB6_138
.LBB6_111:
                                        ; implicit-def: $vgpr2_vgpr3
	s_cbranch_execz .LBB6_138
; %bb.112:
	v_readfirstlane_b32 s3, v33
	v_mov_b32_e32 v8, 0
	v_mov_b32_e32 v9, 0
	s_wait_alu 0xf1ff
	s_delay_alu instid0(VALU_DEP_3)
	v_cmp_eq_u32_e64 s3, s3, v33
	s_and_saveexec_b32 s8, s3
	s_cbranch_execz .LBB6_118
; %bb.113:
	s_wait_loadcnt 0x0
	v_mov_b32_e32 v2, 0
	s_mov_b32 s9, exec_lo
	global_load_b64 v[5:6], v2, s[6:7] offset:24 scope:SCOPE_SYS
	s_wait_loadcnt 0x0
	global_inv scope:SCOPE_SYS
	s_clause 0x1
	global_load_b64 v[3:4], v2, s[6:7] offset:40
	global_load_b64 v[7:8], v2, s[6:7]
	s_wait_loadcnt 0x1
	v_and_b32_e32 v4, v4, v6
	v_and_b32_e32 v3, v3, v5
	s_delay_alu instid0(VALU_DEP_2) | instskip(NEXT) | instid1(VALU_DEP_2)
	v_mul_lo_u32 v4, 24, v4
	v_mul_lo_u32 v9, 0, v3
	v_mul_hi_u32 v10, 24, v3
	v_mul_lo_u32 v3, 24, v3
	s_delay_alu instid0(VALU_DEP_3) | instskip(SKIP_1) | instid1(VALU_DEP_2)
	v_add_nc_u32_e32 v4, v4, v9
	s_wait_loadcnt 0x0
	v_add_co_u32 v3, vcc_lo, v7, v3
	s_delay_alu instid0(VALU_DEP_2) | instskip(SKIP_1) | instid1(VALU_DEP_1)
	v_add_nc_u32_e32 v4, v4, v10
	s_wait_alu 0xfffd
	v_add_co_ci_u32_e64 v4, null, v8, v4, vcc_lo
	global_load_b64 v[3:4], v[3:4], off scope:SCOPE_SYS
	s_wait_loadcnt 0x0
	global_atomic_cmpswap_b64 v[8:9], v2, v[3:6], s[6:7] offset:24 th:TH_ATOMIC_RETURN scope:SCOPE_SYS
	s_wait_loadcnt 0x0
	global_inv scope:SCOPE_SYS
	v_cmpx_ne_u64_e64 v[8:9], v[5:6]
	s_cbranch_execz .LBB6_117
; %bb.114:
	s_mov_b32 s10, 0
.LBB6_115:                              ; =>This Inner Loop Header: Depth=1
	s_sleep 1
	s_clause 0x1
	global_load_b64 v[3:4], v2, s[6:7] offset:40
	global_load_b64 v[10:11], v2, s[6:7]
	v_dual_mov_b32 v5, v8 :: v_dual_mov_b32 v6, v9
	s_wait_loadcnt 0x1
	s_delay_alu instid0(VALU_DEP_1) | instskip(NEXT) | instid1(VALU_DEP_2)
	v_and_b32_e32 v3, v3, v5
	v_and_b32_e32 v4, v4, v6
	s_wait_loadcnt 0x0
	s_delay_alu instid0(VALU_DEP_2) | instskip(NEXT) | instid1(VALU_DEP_1)
	v_mad_co_u64_u32 v[7:8], null, v3, 24, v[10:11]
	v_mov_b32_e32 v3, v8
	s_delay_alu instid0(VALU_DEP_1) | instskip(NEXT) | instid1(VALU_DEP_1)
	v_mad_co_u64_u32 v[3:4], null, v4, 24, v[3:4]
	v_mov_b32_e32 v8, v3
	global_load_b64 v[3:4], v[7:8], off scope:SCOPE_SYS
	s_wait_loadcnt 0x0
	global_atomic_cmpswap_b64 v[8:9], v2, v[3:6], s[6:7] offset:24 th:TH_ATOMIC_RETURN scope:SCOPE_SYS
	s_wait_loadcnt 0x0
	global_inv scope:SCOPE_SYS
	v_cmp_eq_u64_e32 vcc_lo, v[8:9], v[5:6]
	s_wait_alu 0xfffe
	s_or_b32 s10, vcc_lo, s10
	s_wait_alu 0xfffe
	s_and_not1_b32 exec_lo, exec_lo, s10
	s_cbranch_execnz .LBB6_115
; %bb.116:
	s_or_b32 exec_lo, exec_lo, s10
.LBB6_117:
	s_wait_alu 0xfffe
	s_or_b32 exec_lo, exec_lo, s9
.LBB6_118:
	s_wait_alu 0xfffe
	s_or_b32 exec_lo, exec_lo, s8
	v_readfirstlane_b32 s9, v9
	s_wait_loadcnt 0x0
	v_mov_b32_e32 v2, 0
	v_readfirstlane_b32 s8, v8
	s_mov_b32 s10, exec_lo
	s_clause 0x1
	global_load_b64 v[10:11], v2, s[6:7] offset:40
	global_load_b128 v[4:7], v2, s[6:7]
	s_wait_loadcnt 0x1
	s_wait_alu 0xf1ff
	v_and_b32_e32 v11, s9, v11
	v_and_b32_e32 v10, s8, v10
	s_delay_alu instid0(VALU_DEP_2) | instskip(NEXT) | instid1(VALU_DEP_2)
	v_mul_lo_u32 v3, 24, v11
	v_mul_lo_u32 v8, 0, v10
	v_mul_hi_u32 v9, 24, v10
	v_mul_lo_u32 v12, 24, v10
	s_delay_alu instid0(VALU_DEP_3) | instskip(SKIP_1) | instid1(VALU_DEP_2)
	v_add_nc_u32_e32 v3, v3, v8
	s_wait_loadcnt 0x0
	v_add_co_u32 v8, vcc_lo, v4, v12
	s_delay_alu instid0(VALU_DEP_2) | instskip(SKIP_1) | instid1(VALU_DEP_1)
	v_add_nc_u32_e32 v3, v3, v9
	s_wait_alu 0xfffd
	v_add_co_ci_u32_e64 v9, null, v5, v3, vcc_lo
	s_and_saveexec_b32 s11, s3
	s_cbranch_execz .LBB6_120
; %bb.119:
	s_wait_alu 0xfffe
	v_dual_mov_b32 v12, s10 :: v_dual_mov_b32 v13, v2
	v_dual_mov_b32 v14, 2 :: v_dual_mov_b32 v15, 1
	global_store_b128 v[8:9], v[12:15], off offset:8
.LBB6_120:
	s_wait_alu 0xfffe
	s_or_b32 exec_lo, exec_lo, s11
	v_lshlrev_b64_e32 v[10:11], 12, v[10:11]
	s_mov_b32 s12, 0
	v_and_or_b32 v0, 0xffffff1f, v0, 32
	s_wait_alu 0xfffe
	s_mov_b32 s13, s12
	s_mov_b32 s14, s12
	;; [unrolled: 1-line block ×3, first 2 shown]
	v_add_co_u32 v6, vcc_lo, v6, v10
	s_wait_alu 0xfffd
	v_add_co_ci_u32_e64 v7, null, v7, v11, vcc_lo
	v_dual_mov_b32 v3, v2 :: v_dual_mov_b32 v10, s12
	s_delay_alu instid0(VALU_DEP_3) | instskip(SKIP_1) | instid1(VALU_DEP_4)
	v_readfirstlane_b32 s10, v6
	v_add_co_u32 v6, vcc_lo, v6, v32
	v_readfirstlane_b32 s11, v7
	s_wait_alu 0xfffd
	v_add_co_ci_u32_e64 v7, null, 0, v7, vcc_lo
	s_wait_alu 0xfffe
	v_dual_mov_b32 v11, s13 :: v_dual_mov_b32 v12, s14
	v_mov_b32_e32 v13, s15
	s_clause 0x3
	global_store_b128 v32, v[0:3], s[10:11]
	global_store_b128 v32, v[10:13], s[10:11] offset:16
	global_store_b128 v32, v[10:13], s[10:11] offset:32
	;; [unrolled: 1-line block ×3, first 2 shown]
	s_and_saveexec_b32 s10, s3
	s_cbranch_execz .LBB6_127
; %bb.121:
	v_mov_b32_e32 v10, 0
	s_mov_b32 s11, exec_lo
	s_clause 0x1
	global_load_b64 v[13:14], v10, s[6:7] offset:32 scope:SCOPE_SYS
	global_load_b64 v[0:1], v10, s[6:7] offset:40
	v_dual_mov_b32 v11, s8 :: v_dual_mov_b32 v12, s9
	s_wait_loadcnt 0x0
	v_and_b32_e32 v1, s9, v1
	v_and_b32_e32 v0, s8, v0
	s_delay_alu instid0(VALU_DEP_2) | instskip(NEXT) | instid1(VALU_DEP_2)
	v_mul_lo_u32 v1, 24, v1
	v_mul_lo_u32 v2, 0, v0
	v_mul_hi_u32 v3, 24, v0
	v_mul_lo_u32 v0, 24, v0
	s_delay_alu instid0(VALU_DEP_3) | instskip(NEXT) | instid1(VALU_DEP_2)
	v_add_nc_u32_e32 v1, v1, v2
	v_add_co_u32 v4, vcc_lo, v4, v0
	s_delay_alu instid0(VALU_DEP_2) | instskip(SKIP_1) | instid1(VALU_DEP_1)
	v_add_nc_u32_e32 v1, v1, v3
	s_wait_alu 0xfffd
	v_add_co_ci_u32_e64 v5, null, v5, v1, vcc_lo
	global_store_b64 v[4:5], v[13:14], off
	global_wb scope:SCOPE_SYS
	s_wait_storecnt 0x0
	global_atomic_cmpswap_b64 v[2:3], v10, v[11:14], s[6:7] offset:32 th:TH_ATOMIC_RETURN scope:SCOPE_SYS
	s_wait_loadcnt 0x0
	v_cmpx_ne_u64_e64 v[2:3], v[13:14]
	s_cbranch_execz .LBB6_123
.LBB6_122:                              ; =>This Inner Loop Header: Depth=1
	v_dual_mov_b32 v0, s8 :: v_dual_mov_b32 v1, s9
	s_sleep 1
	global_store_b64 v[4:5], v[2:3], off
	global_wb scope:SCOPE_SYS
	s_wait_storecnt 0x0
	global_atomic_cmpswap_b64 v[0:1], v10, v[0:3], s[6:7] offset:32 th:TH_ATOMIC_RETURN scope:SCOPE_SYS
	s_wait_loadcnt 0x0
	v_cmp_eq_u64_e32 vcc_lo, v[0:1], v[2:3]
	v_dual_mov_b32 v3, v1 :: v_dual_mov_b32 v2, v0
	s_or_b32 s12, vcc_lo, s12
	s_wait_alu 0xfffe
	s_and_not1_b32 exec_lo, exec_lo, s12
	s_cbranch_execnz .LBB6_122
.LBB6_123:
	s_wait_alu 0xfffe
	s_or_b32 exec_lo, exec_lo, s11
	v_mov_b32_e32 v3, 0
	s_mov_b32 s12, exec_lo
	s_mov_b32 s11, exec_lo
	s_wait_alu 0xfffe
	v_mbcnt_lo_u32_b32 v2, s12, 0
	global_load_b64 v[0:1], v3, s[6:7] offset:16
	v_cmpx_eq_u32_e32 0, v2
	s_cbranch_execz .LBB6_125
; %bb.124:
	s_bcnt1_i32_b32 s12, s12
	s_wait_alu 0xfffe
	v_mov_b32_e32 v2, s12
	global_wb scope:SCOPE_SYS
	s_wait_loadcnt 0x0
	s_wait_storecnt 0x0
	global_atomic_add_u64 v[0:1], v[2:3], off offset:8 scope:SCOPE_SYS
.LBB6_125:
	s_or_b32 exec_lo, exec_lo, s11
	s_wait_loadcnt 0x0
	global_load_b64 v[2:3], v[0:1], off offset:16
	s_wait_loadcnt 0x0
	v_cmp_eq_u64_e32 vcc_lo, 0, v[2:3]
	s_cbranch_vccnz .LBB6_127
; %bb.126:
	global_load_b32 v0, v[0:1], off offset:24
	v_mov_b32_e32 v1, 0
	s_wait_loadcnt 0x0
	v_readfirstlane_b32 s11, v0
	global_wb scope:SCOPE_SYS
	s_wait_storecnt 0x0
	global_store_b64 v[2:3], v[0:1], off scope:SCOPE_SYS
	s_and_b32 m0, s11, 0xffffff
	s_sendmsg sendmsg(MSG_INTERRUPT)
.LBB6_127:
	s_wait_alu 0xfffe
	s_or_b32 exec_lo, exec_lo, s10
	s_branch .LBB6_131
.LBB6_128:                              ;   in Loop: Header=BB6_131 Depth=1
	s_wait_alu 0xfffe
	s_or_b32 exec_lo, exec_lo, s10
	s_delay_alu instid0(VALU_DEP_1)
	v_readfirstlane_b32 s10, v0
	s_cmp_eq_u32 s10, 0
	s_cbranch_scc1 .LBB6_130
; %bb.129:                              ;   in Loop: Header=BB6_131 Depth=1
	s_sleep 1
	s_cbranch_execnz .LBB6_131
	s_branch .LBB6_133
.LBB6_130:
	s_branch .LBB6_133
.LBB6_131:                              ; =>This Inner Loop Header: Depth=1
	v_mov_b32_e32 v0, 1
	s_and_saveexec_b32 s10, s3
	s_cbranch_execz .LBB6_128
; %bb.132:                              ;   in Loop: Header=BB6_131 Depth=1
	global_load_b32 v0, v[8:9], off offset:20 scope:SCOPE_SYS
	s_wait_loadcnt 0x0
	global_inv scope:SCOPE_SYS
	v_and_b32_e32 v0, 1, v0
	s_branch .LBB6_128
.LBB6_133:
	global_load_b64 v[2:3], v[6:7], off
	s_and_saveexec_b32 s10, s3
	s_cbranch_execz .LBB6_137
; %bb.134:
	v_mov_b32_e32 v8, 0
	s_clause 0x2
	global_load_b64 v[0:1], v8, s[6:7] offset:40
	global_load_b64 v[11:12], v8, s[6:7] offset:24 scope:SCOPE_SYS
	global_load_b64 v[4:5], v8, s[6:7]
	s_wait_loadcnt 0x2
	v_readfirstlane_b32 s12, v0
	v_readfirstlane_b32 s13, v1
	s_add_nc_u64 s[14:15], s[12:13], 1
	s_wait_alu 0xfffe
	s_add_nc_u64 s[8:9], s[14:15], s[8:9]
	s_wait_alu 0xfffe
	s_cmp_eq_u64 s[8:9], 0
	s_cselect_b32 s9, s15, s9
	s_cselect_b32 s8, s14, s8
	s_wait_alu 0xfffe
	v_mov_b32_e32 v10, s9
	s_and_b64 s[12:13], s[8:9], s[12:13]
	v_mov_b32_e32 v9, s8
	s_wait_alu 0xfffe
	s_mul_u64 s[12:13], s[12:13], 24
	s_wait_loadcnt 0x0
	s_wait_alu 0xfffe
	v_add_co_u32 v0, vcc_lo, v4, s12
	s_wait_alu 0xfffd
	v_add_co_ci_u32_e64 v1, null, s13, v5, vcc_lo
	global_store_b64 v[0:1], v[11:12], off
	global_wb scope:SCOPE_SYS
	s_wait_storecnt 0x0
	global_atomic_cmpswap_b64 v[6:7], v8, v[9:12], s[6:7] offset:24 th:TH_ATOMIC_RETURN scope:SCOPE_SYS
	s_wait_loadcnt 0x0
	v_cmp_ne_u64_e32 vcc_lo, v[6:7], v[11:12]
	s_and_b32 exec_lo, exec_lo, vcc_lo
	s_cbranch_execz .LBB6_137
; %bb.135:
	s_mov_b32 s3, 0
.LBB6_136:                              ; =>This Inner Loop Header: Depth=1
	v_dual_mov_b32 v4, s8 :: v_dual_mov_b32 v5, s9
	s_sleep 1
	global_store_b64 v[0:1], v[6:7], off
	global_wb scope:SCOPE_SYS
	s_wait_storecnt 0x0
	global_atomic_cmpswap_b64 v[4:5], v8, v[4:7], s[6:7] offset:24 th:TH_ATOMIC_RETURN scope:SCOPE_SYS
	s_wait_loadcnt 0x0
	v_cmp_eq_u64_e32 vcc_lo, v[4:5], v[6:7]
	v_dual_mov_b32 v7, v5 :: v_dual_mov_b32 v6, v4
	s_wait_alu 0xfffe
	s_or_b32 s3, vcc_lo, s3
	s_wait_alu 0xfffe
	s_and_not1_b32 exec_lo, exec_lo, s3
	s_cbranch_execnz .LBB6_136
.LBB6_137:
	s_wait_alu 0xfffe
	s_or_b32 exec_lo, exec_lo, s10
.LBB6_138:
	v_readfirstlane_b32 s3, v33
	s_wait_loadcnt 0x0
	v_mov_b32_e32 v0, 0
	v_mov_b32_e32 v1, 0
	s_wait_alu 0xf1ff
	v_cmp_eq_u32_e64 s3, s3, v33
	s_and_saveexec_b32 s8, s3
	s_cbranch_execz .LBB6_144
; %bb.139:
	v_mov_b32_e32 v4, 0
	s_mov_b32 s9, exec_lo
	global_load_b64 v[7:8], v4, s[6:7] offset:24 scope:SCOPE_SYS
	s_wait_loadcnt 0x0
	global_inv scope:SCOPE_SYS
	s_clause 0x1
	global_load_b64 v[0:1], v4, s[6:7] offset:40
	global_load_b64 v[5:6], v4, s[6:7]
	s_wait_loadcnt 0x1
	v_and_b32_e32 v1, v1, v8
	v_and_b32_e32 v0, v0, v7
	s_delay_alu instid0(VALU_DEP_2) | instskip(NEXT) | instid1(VALU_DEP_2)
	v_mul_lo_u32 v1, 24, v1
	v_mul_lo_u32 v9, 0, v0
	v_mul_hi_u32 v10, 24, v0
	v_mul_lo_u32 v0, 24, v0
	s_delay_alu instid0(VALU_DEP_3) | instskip(SKIP_1) | instid1(VALU_DEP_2)
	v_add_nc_u32_e32 v1, v1, v9
	s_wait_loadcnt 0x0
	v_add_co_u32 v0, vcc_lo, v5, v0
	s_delay_alu instid0(VALU_DEP_2) | instskip(SKIP_1) | instid1(VALU_DEP_1)
	v_add_nc_u32_e32 v1, v1, v10
	s_wait_alu 0xfffd
	v_add_co_ci_u32_e64 v1, null, v6, v1, vcc_lo
	global_load_b64 v[5:6], v[0:1], off scope:SCOPE_SYS
	s_wait_loadcnt 0x0
	global_atomic_cmpswap_b64 v[0:1], v4, v[5:8], s[6:7] offset:24 th:TH_ATOMIC_RETURN scope:SCOPE_SYS
	s_wait_loadcnt 0x0
	global_inv scope:SCOPE_SYS
	v_cmpx_ne_u64_e64 v[0:1], v[7:8]
	s_cbranch_execz .LBB6_143
; %bb.140:
	s_mov_b32 s10, 0
.LBB6_141:                              ; =>This Inner Loop Header: Depth=1
	s_sleep 1
	s_clause 0x1
	global_load_b64 v[5:6], v4, s[6:7] offset:40
	global_load_b64 v[9:10], v4, s[6:7]
	v_dual_mov_b32 v8, v1 :: v_dual_mov_b32 v7, v0
	s_wait_loadcnt 0x1
	s_delay_alu instid0(VALU_DEP_1) | instskip(NEXT) | instid1(VALU_DEP_2)
	v_and_b32_e32 v0, v5, v7
	v_and_b32_e32 v5, v6, v8
	s_wait_loadcnt 0x0
	s_delay_alu instid0(VALU_DEP_2) | instskip(NEXT) | instid1(VALU_DEP_1)
	v_mad_co_u64_u32 v[0:1], null, v0, 24, v[9:10]
	v_mad_co_u64_u32 v[5:6], null, v5, 24, v[1:2]
	s_delay_alu instid0(VALU_DEP_1)
	v_mov_b32_e32 v1, v5
	global_load_b64 v[5:6], v[0:1], off scope:SCOPE_SYS
	s_wait_loadcnt 0x0
	global_atomic_cmpswap_b64 v[0:1], v4, v[5:8], s[6:7] offset:24 th:TH_ATOMIC_RETURN scope:SCOPE_SYS
	s_wait_loadcnt 0x0
	global_inv scope:SCOPE_SYS
	v_cmp_eq_u64_e32 vcc_lo, v[0:1], v[7:8]
	s_wait_alu 0xfffe
	s_or_b32 s10, vcc_lo, s10
	s_wait_alu 0xfffe
	s_and_not1_b32 exec_lo, exec_lo, s10
	s_cbranch_execnz .LBB6_141
; %bb.142:
	s_or_b32 exec_lo, exec_lo, s10
.LBB6_143:
	s_wait_alu 0xfffe
	s_or_b32 exec_lo, exec_lo, s9
.LBB6_144:
	s_wait_alu 0xfffe
	s_or_b32 exec_lo, exec_lo, s8
	v_readfirstlane_b32 s8, v0
	v_mov_b32_e32 v5, 0
	v_readfirstlane_b32 s9, v1
	s_mov_b32 s10, exec_lo
	s_clause 0x1
	global_load_b64 v[10:11], v5, s[6:7] offset:40
	global_load_b128 v[6:9], v5, s[6:7]
	s_wait_loadcnt 0x1
	s_wait_alu 0xf1ff
	v_and_b32_e32 v1, s9, v11
	v_and_b32_e32 v0, s8, v10
	s_delay_alu instid0(VALU_DEP_2) | instskip(NEXT) | instid1(VALU_DEP_2)
	v_mul_lo_u32 v4, 24, v1
	v_mul_lo_u32 v10, 0, v0
	v_mul_hi_u32 v11, 24, v0
	v_mul_lo_u32 v12, 24, v0
	s_delay_alu instid0(VALU_DEP_3) | instskip(SKIP_1) | instid1(VALU_DEP_2)
	v_add_nc_u32_e32 v4, v4, v10
	s_wait_loadcnt 0x0
	v_add_co_u32 v10, vcc_lo, v6, v12
	s_delay_alu instid0(VALU_DEP_2) | instskip(SKIP_1) | instid1(VALU_DEP_1)
	v_add_nc_u32_e32 v4, v4, v11
	s_wait_alu 0xfffd
	v_add_co_ci_u32_e64 v11, null, v7, v4, vcc_lo
	s_and_saveexec_b32 s11, s3
	s_cbranch_execz .LBB6_146
; %bb.145:
	s_wait_alu 0xfffe
	v_dual_mov_b32 v4, s10 :: v_dual_mov_b32 v15, 1
	v_dual_mov_b32 v14, 2 :: v_dual_mov_b32 v13, v5
	s_delay_alu instid0(VALU_DEP_2)
	v_mov_b32_e32 v12, v4
	global_store_b128 v[10:11], v[12:15], off offset:8
.LBB6_146:
	s_wait_alu 0xfffe
	s_or_b32 exec_lo, exec_lo, s11
	v_lshlrev_b64_e32 v[0:1], 12, v[0:1]
	s_mov_b32 s12, 0
	s_add_co_i32 s10, s20, -1
	s_wait_alu 0xfffe
	s_mov_b32 s13, s12
	s_mov_b32 s14, s12
	;; [unrolled: 1-line block ×3, first 2 shown]
	v_add_co_u32 v0, vcc_lo, v8, v0
	s_wait_alu 0xfffd
	v_add_co_ci_u32_e64 v1, null, v9, v1, vcc_lo
	v_and_or_b32 v2, 0xffffff1f, v2, 32
	s_delay_alu instid0(VALU_DEP_3)
	v_add_co_u32 v8, vcc_lo, v0, v32
	v_mov_b32_e32 v4, s10
	v_readfirstlane_b32 s16, v0
	v_readfirstlane_b32 s17, v1
	s_wait_alu 0xfffe
	v_dual_mov_b32 v12, s12 :: v_dual_mov_b32 v15, s15
	s_wait_alu 0xfffd
	v_add_co_ci_u32_e64 v9, null, 0, v1, vcc_lo
	v_dual_mov_b32 v13, s13 :: v_dual_mov_b32 v14, s14
	s_clause 0x3
	global_store_b128 v32, v[2:5], s[16:17]
	global_store_b128 v32, v[12:15], s[16:17] offset:16
	global_store_b128 v32, v[12:15], s[16:17] offset:32
	;; [unrolled: 1-line block ×3, first 2 shown]
	s_and_saveexec_b32 s11, s3
	s_cbranch_execz .LBB6_154
; %bb.147:
	v_mov_b32_e32 v12, 0
	s_mov_b32 s12, exec_lo
	s_clause 0x1
	global_load_b64 v[15:16], v12, s[6:7] offset:32 scope:SCOPE_SYS
	global_load_b64 v[0:1], v12, s[6:7] offset:40
	v_dual_mov_b32 v13, s8 :: v_dual_mov_b32 v14, s9
	s_wait_loadcnt 0x0
	v_and_b32_e32 v1, s9, v1
	v_and_b32_e32 v0, s8, v0
	s_delay_alu instid0(VALU_DEP_2) | instskip(NEXT) | instid1(VALU_DEP_2)
	v_mul_lo_u32 v1, 24, v1
	v_mul_lo_u32 v2, 0, v0
	v_mul_hi_u32 v3, 24, v0
	v_mul_lo_u32 v0, 24, v0
	s_delay_alu instid0(VALU_DEP_3) | instskip(NEXT) | instid1(VALU_DEP_2)
	v_add_nc_u32_e32 v1, v1, v2
	v_add_co_u32 v4, vcc_lo, v6, v0
	s_delay_alu instid0(VALU_DEP_2) | instskip(SKIP_1) | instid1(VALU_DEP_1)
	v_add_nc_u32_e32 v1, v1, v3
	s_wait_alu 0xfffd
	v_add_co_ci_u32_e64 v5, null, v7, v1, vcc_lo
	global_store_b64 v[4:5], v[15:16], off
	global_wb scope:SCOPE_SYS
	s_wait_storecnt 0x0
	global_atomic_cmpswap_b64 v[2:3], v12, v[13:16], s[6:7] offset:32 th:TH_ATOMIC_RETURN scope:SCOPE_SYS
	s_wait_loadcnt 0x0
	v_cmpx_ne_u64_e64 v[2:3], v[15:16]
	s_cbranch_execz .LBB6_150
; %bb.148:
	s_mov_b32 s13, 0
.LBB6_149:                              ; =>This Inner Loop Header: Depth=1
	v_dual_mov_b32 v0, s8 :: v_dual_mov_b32 v1, s9
	s_sleep 1
	global_store_b64 v[4:5], v[2:3], off
	global_wb scope:SCOPE_SYS
	s_wait_storecnt 0x0
	global_atomic_cmpswap_b64 v[0:1], v12, v[0:3], s[6:7] offset:32 th:TH_ATOMIC_RETURN scope:SCOPE_SYS
	s_wait_loadcnt 0x0
	v_cmp_eq_u64_e32 vcc_lo, v[0:1], v[2:3]
	v_dual_mov_b32 v3, v1 :: v_dual_mov_b32 v2, v0
	s_wait_alu 0xfffe
	s_or_b32 s13, vcc_lo, s13
	s_wait_alu 0xfffe
	s_and_not1_b32 exec_lo, exec_lo, s13
	s_cbranch_execnz .LBB6_149
.LBB6_150:
	s_wait_alu 0xfffe
	s_or_b32 exec_lo, exec_lo, s12
	v_mov_b32_e32 v3, 0
	s_mov_b32 s13, exec_lo
	s_mov_b32 s12, exec_lo
	s_wait_alu 0xfffe
	v_mbcnt_lo_u32_b32 v2, s13, 0
	global_load_b64 v[0:1], v3, s[6:7] offset:16
	v_cmpx_eq_u32_e32 0, v2
	s_cbranch_execz .LBB6_152
; %bb.151:
	s_bcnt1_i32_b32 s13, s13
	s_wait_alu 0xfffe
	v_mov_b32_e32 v2, s13
	global_wb scope:SCOPE_SYS
	s_wait_loadcnt 0x0
	s_wait_storecnt 0x0
	global_atomic_add_u64 v[0:1], v[2:3], off offset:8 scope:SCOPE_SYS
.LBB6_152:
	s_or_b32 exec_lo, exec_lo, s12
	s_wait_loadcnt 0x0
	global_load_b64 v[2:3], v[0:1], off offset:16
	s_wait_loadcnt 0x0
	v_cmp_eq_u64_e32 vcc_lo, 0, v[2:3]
	s_cbranch_vccnz .LBB6_154
; %bb.153:
	global_load_b32 v0, v[0:1], off offset:24
	v_mov_b32_e32 v1, 0
	s_wait_loadcnt 0x0
	v_readfirstlane_b32 s12, v0
	global_wb scope:SCOPE_SYS
	s_wait_storecnt 0x0
	global_store_b64 v[2:3], v[0:1], off scope:SCOPE_SYS
	s_and_b32 m0, s12, 0xffffff
	s_sendmsg sendmsg(MSG_INTERRUPT)
.LBB6_154:
	s_wait_alu 0xfffe
	s_or_b32 exec_lo, exec_lo, s11
	s_branch .LBB6_158
.LBB6_155:                              ;   in Loop: Header=BB6_158 Depth=1
	s_wait_alu 0xfffe
	s_or_b32 exec_lo, exec_lo, s11
	s_delay_alu instid0(VALU_DEP_1)
	v_readfirstlane_b32 s11, v0
	s_cmp_eq_u32 s11, 0
	s_cbranch_scc1 .LBB6_157
; %bb.156:                              ;   in Loop: Header=BB6_158 Depth=1
	s_sleep 1
	s_cbranch_execnz .LBB6_158
	s_branch .LBB6_160
.LBB6_157:
	s_branch .LBB6_160
.LBB6_158:                              ; =>This Inner Loop Header: Depth=1
	v_mov_b32_e32 v0, 1
	s_and_saveexec_b32 s11, s3
	s_cbranch_execz .LBB6_155
; %bb.159:                              ;   in Loop: Header=BB6_158 Depth=1
	global_load_b32 v0, v[10:11], off offset:20 scope:SCOPE_SYS
	s_wait_loadcnt 0x0
	global_inv scope:SCOPE_SYS
	v_and_b32_e32 v0, 1, v0
	s_branch .LBB6_155
.LBB6_160:
	global_load_b64 v[0:1], v[8:9], off
	s_and_saveexec_b32 s11, s3
	s_cbranch_execz .LBB6_164
; %bb.161:
	v_mov_b32_e32 v8, 0
	s_clause 0x2
	global_load_b64 v[2:3], v8, s[6:7] offset:40
	global_load_b64 v[11:12], v8, s[6:7] offset:24 scope:SCOPE_SYS
	global_load_b64 v[4:5], v8, s[6:7]
	s_wait_loadcnt 0x2
	v_readfirstlane_b32 s12, v2
	v_readfirstlane_b32 s13, v3
	s_add_nc_u64 s[14:15], s[12:13], 1
	s_wait_alu 0xfffe
	s_add_nc_u64 s[8:9], s[14:15], s[8:9]
	s_wait_alu 0xfffe
	s_cmp_eq_u64 s[8:9], 0
	s_cselect_b32 s9, s15, s9
	s_cselect_b32 s8, s14, s8
	s_wait_alu 0xfffe
	v_mov_b32_e32 v10, s9
	s_and_b64 s[12:13], s[8:9], s[12:13]
	v_mov_b32_e32 v9, s8
	s_wait_alu 0xfffe
	s_mul_u64 s[12:13], s[12:13], 24
	s_wait_loadcnt 0x0
	s_wait_alu 0xfffe
	v_add_co_u32 v6, vcc_lo, v4, s12
	s_wait_alu 0xfffd
	v_add_co_ci_u32_e64 v7, null, s13, v5, vcc_lo
	global_store_b64 v[6:7], v[11:12], off
	global_wb scope:SCOPE_SYS
	s_wait_storecnt 0x0
	global_atomic_cmpswap_b64 v[4:5], v8, v[9:12], s[6:7] offset:24 th:TH_ATOMIC_RETURN scope:SCOPE_SYS
	s_wait_loadcnt 0x0
	v_cmp_ne_u64_e32 vcc_lo, v[4:5], v[11:12]
	s_and_b32 exec_lo, exec_lo, vcc_lo
	s_cbranch_execz .LBB6_164
; %bb.162:
	s_mov_b32 s3, 0
.LBB6_163:                              ; =>This Inner Loop Header: Depth=1
	v_dual_mov_b32 v2, s8 :: v_dual_mov_b32 v3, s9
	s_sleep 1
	global_store_b64 v[6:7], v[4:5], off
	global_wb scope:SCOPE_SYS
	s_wait_storecnt 0x0
	global_atomic_cmpswap_b64 v[2:3], v8, v[2:5], s[6:7] offset:24 th:TH_ATOMIC_RETURN scope:SCOPE_SYS
	s_wait_loadcnt 0x0
	v_cmp_eq_u64_e32 vcc_lo, v[2:3], v[4:5]
	v_dual_mov_b32 v5, v3 :: v_dual_mov_b32 v4, v2
	s_wait_alu 0xfffe
	s_or_b32 s3, vcc_lo, s3
	s_wait_alu 0xfffe
	s_and_not1_b32 exec_lo, exec_lo, s3
	s_cbranch_execnz .LBB6_163
.LBB6_164:
	s_wait_alu 0xfffe
	s_or_b32 exec_lo, exec_lo, s11
	v_readfirstlane_b32 s3, v33
	v_mov_b32_e32 v8, 0
	v_mov_b32_e32 v9, 0
	s_wait_alu 0xf1ff
	s_delay_alu instid0(VALU_DEP_3)
	v_cmp_eq_u32_e64 s3, s3, v33
	s_and_saveexec_b32 s8, s3
	s_cbranch_execz .LBB6_170
; %bb.165:
	v_mov_b32_e32 v2, 0
	s_mov_b32 s9, exec_lo
	global_load_b64 v[5:6], v2, s[6:7] offset:24 scope:SCOPE_SYS
	s_wait_loadcnt 0x0
	global_inv scope:SCOPE_SYS
	s_clause 0x1
	global_load_b64 v[3:4], v2, s[6:7] offset:40
	global_load_b64 v[7:8], v2, s[6:7]
	s_wait_loadcnt 0x1
	v_and_b32_e32 v4, v4, v6
	v_and_b32_e32 v3, v3, v5
	s_delay_alu instid0(VALU_DEP_2) | instskip(NEXT) | instid1(VALU_DEP_2)
	v_mul_lo_u32 v4, 24, v4
	v_mul_lo_u32 v9, 0, v3
	v_mul_hi_u32 v10, 24, v3
	v_mul_lo_u32 v3, 24, v3
	s_delay_alu instid0(VALU_DEP_3) | instskip(SKIP_1) | instid1(VALU_DEP_2)
	v_add_nc_u32_e32 v4, v4, v9
	s_wait_loadcnt 0x0
	v_add_co_u32 v3, vcc_lo, v7, v3
	s_delay_alu instid0(VALU_DEP_2) | instskip(SKIP_1) | instid1(VALU_DEP_1)
	v_add_nc_u32_e32 v4, v4, v10
	s_wait_alu 0xfffd
	v_add_co_ci_u32_e64 v4, null, v8, v4, vcc_lo
	global_load_b64 v[3:4], v[3:4], off scope:SCOPE_SYS
	s_wait_loadcnt 0x0
	global_atomic_cmpswap_b64 v[8:9], v2, v[3:6], s[6:7] offset:24 th:TH_ATOMIC_RETURN scope:SCOPE_SYS
	s_wait_loadcnt 0x0
	global_inv scope:SCOPE_SYS
	v_cmpx_ne_u64_e64 v[8:9], v[5:6]
	s_cbranch_execz .LBB6_169
; %bb.166:
	s_mov_b32 s11, 0
.LBB6_167:                              ; =>This Inner Loop Header: Depth=1
	s_sleep 1
	s_clause 0x1
	global_load_b64 v[3:4], v2, s[6:7] offset:40
	global_load_b64 v[10:11], v2, s[6:7]
	v_dual_mov_b32 v5, v8 :: v_dual_mov_b32 v6, v9
	s_wait_loadcnt 0x1
	s_delay_alu instid0(VALU_DEP_1) | instskip(NEXT) | instid1(VALU_DEP_2)
	v_and_b32_e32 v3, v3, v5
	v_and_b32_e32 v4, v4, v6
	s_wait_loadcnt 0x0
	s_delay_alu instid0(VALU_DEP_2) | instskip(NEXT) | instid1(VALU_DEP_1)
	v_mad_co_u64_u32 v[7:8], null, v3, 24, v[10:11]
	v_mov_b32_e32 v3, v8
	s_delay_alu instid0(VALU_DEP_1) | instskip(NEXT) | instid1(VALU_DEP_1)
	v_mad_co_u64_u32 v[3:4], null, v4, 24, v[3:4]
	v_mov_b32_e32 v8, v3
	global_load_b64 v[3:4], v[7:8], off scope:SCOPE_SYS
	s_wait_loadcnt 0x0
	global_atomic_cmpswap_b64 v[8:9], v2, v[3:6], s[6:7] offset:24 th:TH_ATOMIC_RETURN scope:SCOPE_SYS
	s_wait_loadcnt 0x0
	global_inv scope:SCOPE_SYS
	v_cmp_eq_u64_e32 vcc_lo, v[8:9], v[5:6]
	s_wait_alu 0xfffe
	s_or_b32 s11, vcc_lo, s11
	s_wait_alu 0xfffe
	s_and_not1_b32 exec_lo, exec_lo, s11
	s_cbranch_execnz .LBB6_167
; %bb.168:
	s_or_b32 exec_lo, exec_lo, s11
.LBB6_169:
	s_wait_alu 0xfffe
	s_or_b32 exec_lo, exec_lo, s9
.LBB6_170:
	s_wait_alu 0xfffe
	s_or_b32 exec_lo, exec_lo, s8
	v_readfirstlane_b32 s8, v8
	v_mov_b32_e32 v3, 0
	v_readfirstlane_b32 s9, v9
	s_mov_b32 s11, exec_lo
	s_clause 0x1
	global_load_b64 v[10:11], v3, s[6:7] offset:40
	global_load_b128 v[4:7], v3, s[6:7]
	s_wait_loadcnt 0x1
	s_wait_alu 0xf1ff
	v_and_b32_e32 v11, s9, v11
	v_and_b32_e32 v10, s8, v10
	s_delay_alu instid0(VALU_DEP_2) | instskip(NEXT) | instid1(VALU_DEP_2)
	v_mul_lo_u32 v2, 24, v11
	v_mul_lo_u32 v8, 0, v10
	v_mul_hi_u32 v9, 24, v10
	v_mul_lo_u32 v12, 24, v10
	s_delay_alu instid0(VALU_DEP_3) | instskip(SKIP_1) | instid1(VALU_DEP_2)
	v_add_nc_u32_e32 v2, v2, v8
	s_wait_loadcnt 0x0
	v_add_co_u32 v8, vcc_lo, v4, v12
	s_delay_alu instid0(VALU_DEP_2) | instskip(SKIP_1) | instid1(VALU_DEP_1)
	v_add_nc_u32_e32 v2, v2, v9
	s_wait_alu 0xfffd
	v_add_co_ci_u32_e64 v9, null, v5, v2, vcc_lo
	s_and_saveexec_b32 s12, s3
	s_cbranch_execz .LBB6_172
; %bb.171:
	s_wait_alu 0xfffe
	v_dual_mov_b32 v2, s11 :: v_dual_mov_b32 v15, 1
	v_dual_mov_b32 v14, 2 :: v_dual_mov_b32 v13, v3
	s_delay_alu instid0(VALU_DEP_2)
	v_mov_b32_e32 v12, v2
	global_store_b128 v[8:9], v[12:15], off offset:8
.LBB6_172:
	s_wait_alu 0xfffe
	s_or_b32 exec_lo, exec_lo, s12
	v_lshlrev_b64_e32 v[10:11], 12, v[10:11]
	s_mov_b32 s12, 0
	v_cndmask_b32_e64 v2, -1, v34, s2
	s_wait_alu 0xfffe
	s_mov_b32 s13, s12
	s_mov_b32 s14, s12
	;; [unrolled: 1-line block ×3, first 2 shown]
	v_add_co_u32 v6, vcc_lo, v6, v10
	s_wait_alu 0xfffd
	v_add_co_ci_u32_e64 v7, null, v7, v11, vcc_lo
	v_and_or_b32 v0, 0xffffff1f, v0, 32
	s_delay_alu instid0(VALU_DEP_3) | instskip(SKIP_1) | instid1(VALU_DEP_4)
	v_readfirstlane_b32 s16, v6
	v_add_co_u32 v6, vcc_lo, v6, v32
	v_readfirstlane_b32 s17, v7
	s_wait_alu 0xfffe
	v_dual_mov_b32 v10, s12 :: v_dual_mov_b32 v11, s13
	s_wait_alu 0xfffd
	v_add_co_ci_u32_e64 v7, null, 0, v7, vcc_lo
	v_dual_mov_b32 v12, s14 :: v_dual_mov_b32 v13, s15
	s_clause 0x3
	global_store_b128 v32, v[0:3], s[16:17]
	global_store_b128 v32, v[10:13], s[16:17] offset:16
	global_store_b128 v32, v[10:13], s[16:17] offset:32
	;; [unrolled: 1-line block ×3, first 2 shown]
	s_and_saveexec_b32 s2, s3
	s_cbranch_execz .LBB6_179
; %bb.173:
	v_mov_b32_e32 v10, 0
	s_mov_b32 s11, exec_lo
	s_clause 0x1
	global_load_b64 v[13:14], v10, s[6:7] offset:32 scope:SCOPE_SYS
	global_load_b64 v[0:1], v10, s[6:7] offset:40
	v_dual_mov_b32 v11, s8 :: v_dual_mov_b32 v12, s9
	s_wait_loadcnt 0x0
	v_and_b32_e32 v1, s9, v1
	v_and_b32_e32 v0, s8, v0
	s_delay_alu instid0(VALU_DEP_2) | instskip(NEXT) | instid1(VALU_DEP_2)
	v_mul_lo_u32 v1, 24, v1
	v_mul_lo_u32 v2, 0, v0
	v_mul_hi_u32 v3, 24, v0
	v_mul_lo_u32 v0, 24, v0
	s_delay_alu instid0(VALU_DEP_3) | instskip(NEXT) | instid1(VALU_DEP_2)
	v_add_nc_u32_e32 v1, v1, v2
	v_add_co_u32 v4, vcc_lo, v4, v0
	s_delay_alu instid0(VALU_DEP_2) | instskip(SKIP_1) | instid1(VALU_DEP_1)
	v_add_nc_u32_e32 v1, v1, v3
	s_wait_alu 0xfffd
	v_add_co_ci_u32_e64 v5, null, v5, v1, vcc_lo
	global_store_b64 v[4:5], v[13:14], off
	global_wb scope:SCOPE_SYS
	s_wait_storecnt 0x0
	global_atomic_cmpswap_b64 v[2:3], v10, v[11:14], s[6:7] offset:32 th:TH_ATOMIC_RETURN scope:SCOPE_SYS
	s_wait_loadcnt 0x0
	v_cmpx_ne_u64_e64 v[2:3], v[13:14]
	s_cbranch_execz .LBB6_175
.LBB6_174:                              ; =>This Inner Loop Header: Depth=1
	v_dual_mov_b32 v0, s8 :: v_dual_mov_b32 v1, s9
	s_sleep 1
	global_store_b64 v[4:5], v[2:3], off
	global_wb scope:SCOPE_SYS
	s_wait_storecnt 0x0
	global_atomic_cmpswap_b64 v[0:1], v10, v[0:3], s[6:7] offset:32 th:TH_ATOMIC_RETURN scope:SCOPE_SYS
	s_wait_loadcnt 0x0
	v_cmp_eq_u64_e32 vcc_lo, v[0:1], v[2:3]
	v_dual_mov_b32 v3, v1 :: v_dual_mov_b32 v2, v0
	s_or_b32 s12, vcc_lo, s12
	s_wait_alu 0xfffe
	s_and_not1_b32 exec_lo, exec_lo, s12
	s_cbranch_execnz .LBB6_174
.LBB6_175:
	s_wait_alu 0xfffe
	s_or_b32 exec_lo, exec_lo, s11
	v_mov_b32_e32 v3, 0
	s_mov_b32 s12, exec_lo
	s_mov_b32 s11, exec_lo
	s_wait_alu 0xfffe
	v_mbcnt_lo_u32_b32 v2, s12, 0
	global_load_b64 v[0:1], v3, s[6:7] offset:16
	v_cmpx_eq_u32_e32 0, v2
	s_cbranch_execz .LBB6_177
; %bb.176:
	s_bcnt1_i32_b32 s12, s12
	s_wait_alu 0xfffe
	v_mov_b32_e32 v2, s12
	global_wb scope:SCOPE_SYS
	s_wait_loadcnt 0x0
	s_wait_storecnt 0x0
	global_atomic_add_u64 v[0:1], v[2:3], off offset:8 scope:SCOPE_SYS
.LBB6_177:
	s_or_b32 exec_lo, exec_lo, s11
	s_wait_loadcnt 0x0
	global_load_b64 v[2:3], v[0:1], off offset:16
	s_wait_loadcnt 0x0
	v_cmp_eq_u64_e32 vcc_lo, 0, v[2:3]
	s_cbranch_vccnz .LBB6_179
; %bb.178:
	global_load_b32 v0, v[0:1], off offset:24
	v_mov_b32_e32 v1, 0
	s_wait_loadcnt 0x0
	v_readfirstlane_b32 s11, v0
	global_wb scope:SCOPE_SYS
	s_wait_storecnt 0x0
	global_store_b64 v[2:3], v[0:1], off scope:SCOPE_SYS
	s_and_b32 m0, s11, 0xffffff
	s_sendmsg sendmsg(MSG_INTERRUPT)
.LBB6_179:
	s_wait_alu 0xfffe
	s_or_b32 exec_lo, exec_lo, s2
	s_branch .LBB6_183
.LBB6_180:                              ;   in Loop: Header=BB6_183 Depth=1
	s_wait_alu 0xfffe
	s_or_b32 exec_lo, exec_lo, s2
	s_delay_alu instid0(VALU_DEP_1)
	v_readfirstlane_b32 s2, v0
	s_cmp_eq_u32 s2, 0
	s_cbranch_scc1 .LBB6_182
; %bb.181:                              ;   in Loop: Header=BB6_183 Depth=1
	s_sleep 1
	s_cbranch_execnz .LBB6_183
	s_branch .LBB6_185
.LBB6_182:
	s_branch .LBB6_185
.LBB6_183:                              ; =>This Inner Loop Header: Depth=1
	v_mov_b32_e32 v0, 1
	s_and_saveexec_b32 s2, s3
	s_cbranch_execz .LBB6_180
; %bb.184:                              ;   in Loop: Header=BB6_183 Depth=1
	global_load_b32 v0, v[8:9], off offset:20 scope:SCOPE_SYS
	s_wait_loadcnt 0x0
	global_inv scope:SCOPE_SYS
	v_and_b32_e32 v0, 1, v0
	s_branch .LBB6_180
.LBB6_185:
	global_load_b64 v[0:1], v[6:7], off
	s_and_saveexec_b32 s11, s3
	s_cbranch_execz .LBB6_189
; %bb.186:
	v_mov_b32_e32 v8, 0
	s_clause 0x2
	global_load_b64 v[2:3], v8, s[6:7] offset:40
	global_load_b64 v[11:12], v8, s[6:7] offset:24 scope:SCOPE_SYS
	global_load_b64 v[4:5], v8, s[6:7]
	s_wait_loadcnt 0x2
	v_readfirstlane_b32 s12, v2
	v_readfirstlane_b32 s13, v3
	s_add_nc_u64 s[2:3], s[12:13], 1
	s_wait_alu 0xfffe
	s_add_nc_u64 s[8:9], s[2:3], s[8:9]
	s_wait_alu 0xfffe
	s_cmp_eq_u64 s[8:9], 0
	s_cselect_b32 s3, s3, s9
	s_cselect_b32 s2, s2, s8
	s_wait_alu 0xfffe
	v_mov_b32_e32 v10, s3
	s_and_b64 s[8:9], s[2:3], s[12:13]
	v_mov_b32_e32 v9, s2
	s_wait_alu 0xfffe
	s_mul_u64 s[8:9], s[8:9], 24
	s_wait_loadcnt 0x0
	s_wait_alu 0xfffe
	v_add_co_u32 v6, vcc_lo, v4, s8
	s_wait_alu 0xfffd
	v_add_co_ci_u32_e64 v7, null, s9, v5, vcc_lo
	global_store_b64 v[6:7], v[11:12], off
	global_wb scope:SCOPE_SYS
	s_wait_storecnt 0x0
	global_atomic_cmpswap_b64 v[4:5], v8, v[9:12], s[6:7] offset:24 th:TH_ATOMIC_RETURN scope:SCOPE_SYS
	s_wait_loadcnt 0x0
	v_cmp_ne_u64_e32 vcc_lo, v[4:5], v[11:12]
	s_and_b32 exec_lo, exec_lo, vcc_lo
	s_cbranch_execz .LBB6_189
; %bb.187:
	s_mov_b32 s8, 0
.LBB6_188:                              ; =>This Inner Loop Header: Depth=1
	v_dual_mov_b32 v2, s2 :: v_dual_mov_b32 v3, s3
	s_sleep 1
	global_store_b64 v[6:7], v[4:5], off
	global_wb scope:SCOPE_SYS
	s_wait_storecnt 0x0
	global_atomic_cmpswap_b64 v[2:3], v8, v[2:5], s[6:7] offset:24 th:TH_ATOMIC_RETURN scope:SCOPE_SYS
	s_wait_loadcnt 0x0
	v_cmp_eq_u64_e32 vcc_lo, v[2:3], v[4:5]
	v_dual_mov_b32 v5, v3 :: v_dual_mov_b32 v4, v2
	s_wait_alu 0xfffe
	s_or_b32 s8, vcc_lo, s8
	s_wait_alu 0xfffe
	s_and_not1_b32 exec_lo, exec_lo, s8
	s_cbranch_execnz .LBB6_188
.LBB6_189:
	s_wait_alu 0xfffe
	s_or_b32 exec_lo, exec_lo, s11
	v_readfirstlane_b32 s2, v33
	v_mov_b32_e32 v8, 0
	v_mov_b32_e32 v9, 0
	s_wait_alu 0xf1ff
	s_delay_alu instid0(VALU_DEP_3)
	v_cmp_eq_u32_e64 s2, s2, v33
	s_and_saveexec_b32 s3, s2
	s_cbranch_execz .LBB6_195
; %bb.190:
	v_mov_b32_e32 v2, 0
	s_mov_b32 s8, exec_lo
	global_load_b64 v[5:6], v2, s[6:7] offset:24 scope:SCOPE_SYS
	s_wait_loadcnt 0x0
	global_inv scope:SCOPE_SYS
	s_clause 0x1
	global_load_b64 v[3:4], v2, s[6:7] offset:40
	global_load_b64 v[7:8], v2, s[6:7]
	s_wait_loadcnt 0x1
	v_and_b32_e32 v4, v4, v6
	v_and_b32_e32 v3, v3, v5
	s_delay_alu instid0(VALU_DEP_2) | instskip(NEXT) | instid1(VALU_DEP_2)
	v_mul_lo_u32 v4, 24, v4
	v_mul_lo_u32 v9, 0, v3
	v_mul_hi_u32 v10, 24, v3
	v_mul_lo_u32 v3, 24, v3
	s_delay_alu instid0(VALU_DEP_3) | instskip(SKIP_1) | instid1(VALU_DEP_2)
	v_add_nc_u32_e32 v4, v4, v9
	s_wait_loadcnt 0x0
	v_add_co_u32 v3, vcc_lo, v7, v3
	s_delay_alu instid0(VALU_DEP_2) | instskip(SKIP_1) | instid1(VALU_DEP_1)
	v_add_nc_u32_e32 v4, v4, v10
	s_wait_alu 0xfffd
	v_add_co_ci_u32_e64 v4, null, v8, v4, vcc_lo
	global_load_b64 v[3:4], v[3:4], off scope:SCOPE_SYS
	s_wait_loadcnt 0x0
	global_atomic_cmpswap_b64 v[8:9], v2, v[3:6], s[6:7] offset:24 th:TH_ATOMIC_RETURN scope:SCOPE_SYS
	s_wait_loadcnt 0x0
	global_inv scope:SCOPE_SYS
	v_cmpx_ne_u64_e64 v[8:9], v[5:6]
	s_cbranch_execz .LBB6_194
; %bb.191:
	s_mov_b32 s9, 0
.LBB6_192:                              ; =>This Inner Loop Header: Depth=1
	s_sleep 1
	s_clause 0x1
	global_load_b64 v[3:4], v2, s[6:7] offset:40
	global_load_b64 v[10:11], v2, s[6:7]
	v_dual_mov_b32 v5, v8 :: v_dual_mov_b32 v6, v9
	s_wait_loadcnt 0x1
	s_delay_alu instid0(VALU_DEP_1) | instskip(NEXT) | instid1(VALU_DEP_2)
	v_and_b32_e32 v3, v3, v5
	v_and_b32_e32 v4, v4, v6
	s_wait_loadcnt 0x0
	s_delay_alu instid0(VALU_DEP_2) | instskip(NEXT) | instid1(VALU_DEP_1)
	v_mad_co_u64_u32 v[7:8], null, v3, 24, v[10:11]
	v_mov_b32_e32 v3, v8
	s_delay_alu instid0(VALU_DEP_1) | instskip(NEXT) | instid1(VALU_DEP_1)
	v_mad_co_u64_u32 v[3:4], null, v4, 24, v[3:4]
	v_mov_b32_e32 v8, v3
	global_load_b64 v[3:4], v[7:8], off scope:SCOPE_SYS
	s_wait_loadcnt 0x0
	global_atomic_cmpswap_b64 v[8:9], v2, v[3:6], s[6:7] offset:24 th:TH_ATOMIC_RETURN scope:SCOPE_SYS
	s_wait_loadcnt 0x0
	global_inv scope:SCOPE_SYS
	v_cmp_eq_u64_e32 vcc_lo, v[8:9], v[5:6]
	s_wait_alu 0xfffe
	s_or_b32 s9, vcc_lo, s9
	s_wait_alu 0xfffe
	s_and_not1_b32 exec_lo, exec_lo, s9
	s_cbranch_execnz .LBB6_192
; %bb.193:
	s_or_b32 exec_lo, exec_lo, s9
.LBB6_194:
	s_wait_alu 0xfffe
	s_or_b32 exec_lo, exec_lo, s8
.LBB6_195:
	s_wait_alu 0xfffe
	s_or_b32 exec_lo, exec_lo, s3
	v_readfirstlane_b32 s8, v8
	v_mov_b32_e32 v3, 0
	v_readfirstlane_b32 s9, v9
	s_mov_b32 s3, exec_lo
	s_clause 0x1
	global_load_b64 v[10:11], v3, s[6:7] offset:40
	global_load_b128 v[4:7], v3, s[6:7]
	s_wait_loadcnt 0x1
	s_wait_alu 0xf1ff
	v_and_b32_e32 v11, s9, v11
	v_and_b32_e32 v10, s8, v10
	s_delay_alu instid0(VALU_DEP_2) | instskip(NEXT) | instid1(VALU_DEP_2)
	v_mul_lo_u32 v2, 24, v11
	v_mul_lo_u32 v8, 0, v10
	v_mul_hi_u32 v9, 24, v10
	v_mul_lo_u32 v12, 24, v10
	s_delay_alu instid0(VALU_DEP_3) | instskip(SKIP_1) | instid1(VALU_DEP_2)
	v_add_nc_u32_e32 v2, v2, v8
	s_wait_loadcnt 0x0
	v_add_co_u32 v8, vcc_lo, v4, v12
	s_delay_alu instid0(VALU_DEP_2) | instskip(SKIP_1) | instid1(VALU_DEP_1)
	v_add_nc_u32_e32 v2, v2, v9
	s_wait_alu 0xfffd
	v_add_co_ci_u32_e64 v9, null, v5, v2, vcc_lo
	s_and_saveexec_b32 s11, s2
	s_cbranch_execz .LBB6_197
; %bb.196:
	s_wait_alu 0xfffe
	v_dual_mov_b32 v2, s3 :: v_dual_mov_b32 v15, 1
	v_dual_mov_b32 v14, 2 :: v_dual_mov_b32 v13, v3
	s_delay_alu instid0(VALU_DEP_2)
	v_mov_b32_e32 v12, v2
	global_store_b128 v[8:9], v[12:15], off offset:8
.LBB6_197:
	s_wait_alu 0xfffe
	s_or_b32 exec_lo, exec_lo, s11
	v_lshlrev_b64_e32 v[10:11], 12, v[10:11]
	s_mul_i32 s10, s10, s20
	s_mov_b32 s12, 0
	s_wait_alu 0xfffe
	s_lshr_b32 s3, s10, 1
	s_mov_b32 s13, s12
	s_mov_b32 s14, s12
	v_add_co_u32 v6, vcc_lo, v6, v10
	s_wait_alu 0xfffd
	v_add_co_ci_u32_e64 v7, null, v7, v11, vcc_lo
	s_mov_b32 s15, s12
	v_and_or_b32 v0, 0xffffff1d, v0, 34
	s_wait_alu 0xfffe
	v_mov_b32_e32 v2, s3
	v_readfirstlane_b32 s10, v6
	v_readfirstlane_b32 s11, v7
	v_dual_mov_b32 v10, s12 :: v_dual_mov_b32 v13, s15
	v_dual_mov_b32 v11, s13 :: v_dual_mov_b32 v12, s14
	s_clause 0x3
	global_store_b128 v32, v[0:3], s[10:11]
	global_store_b128 v32, v[10:13], s[10:11] offset:16
	global_store_b128 v32, v[10:13], s[10:11] offset:32
	;; [unrolled: 1-line block ×3, first 2 shown]
	s_and_saveexec_b32 s3, s2
	s_cbranch_execz .LBB6_205
; %bb.198:
	v_mov_b32_e32 v6, 0
	s_mov_b32 s10, exec_lo
	s_clause 0x1
	global_load_b64 v[12:13], v6, s[6:7] offset:32 scope:SCOPE_SYS
	global_load_b64 v[0:1], v6, s[6:7] offset:40
	v_dual_mov_b32 v11, s9 :: v_dual_mov_b32 v10, s8
	s_wait_loadcnt 0x0
	v_and_b32_e32 v1, s9, v1
	v_and_b32_e32 v0, s8, v0
	s_delay_alu instid0(VALU_DEP_2) | instskip(NEXT) | instid1(VALU_DEP_2)
	v_mul_lo_u32 v1, 24, v1
	v_mul_lo_u32 v2, 0, v0
	v_mul_hi_u32 v3, 24, v0
	v_mul_lo_u32 v0, 24, v0
	s_delay_alu instid0(VALU_DEP_3) | instskip(NEXT) | instid1(VALU_DEP_2)
	v_add_nc_u32_e32 v1, v1, v2
	v_add_co_u32 v4, vcc_lo, v4, v0
	s_delay_alu instid0(VALU_DEP_2) | instskip(SKIP_1) | instid1(VALU_DEP_1)
	v_add_nc_u32_e32 v1, v1, v3
	s_wait_alu 0xfffd
	v_add_co_ci_u32_e64 v5, null, v5, v1, vcc_lo
	global_store_b64 v[4:5], v[12:13], off
	global_wb scope:SCOPE_SYS
	s_wait_storecnt 0x0
	global_atomic_cmpswap_b64 v[2:3], v6, v[10:13], s[6:7] offset:32 th:TH_ATOMIC_RETURN scope:SCOPE_SYS
	s_wait_loadcnt 0x0
	v_cmpx_ne_u64_e64 v[2:3], v[12:13]
	s_cbranch_execz .LBB6_201
; %bb.199:
	s_mov_b32 s11, 0
.LBB6_200:                              ; =>This Inner Loop Header: Depth=1
	v_dual_mov_b32 v0, s8 :: v_dual_mov_b32 v1, s9
	s_sleep 1
	global_store_b64 v[4:5], v[2:3], off
	global_wb scope:SCOPE_SYS
	s_wait_storecnt 0x0
	global_atomic_cmpswap_b64 v[0:1], v6, v[0:3], s[6:7] offset:32 th:TH_ATOMIC_RETURN scope:SCOPE_SYS
	s_wait_loadcnt 0x0
	v_cmp_eq_u64_e32 vcc_lo, v[0:1], v[2:3]
	v_dual_mov_b32 v3, v1 :: v_dual_mov_b32 v2, v0
	s_wait_alu 0xfffe
	s_or_b32 s11, vcc_lo, s11
	s_wait_alu 0xfffe
	s_and_not1_b32 exec_lo, exec_lo, s11
	s_cbranch_execnz .LBB6_200
.LBB6_201:
	s_wait_alu 0xfffe
	s_or_b32 exec_lo, exec_lo, s10
	v_mov_b32_e32 v3, 0
	s_mov_b32 s11, exec_lo
	s_mov_b32 s10, exec_lo
	s_wait_alu 0xfffe
	v_mbcnt_lo_u32_b32 v2, s11, 0
	global_load_b64 v[0:1], v3, s[6:7] offset:16
	v_cmpx_eq_u32_e32 0, v2
	s_cbranch_execz .LBB6_203
; %bb.202:
	s_bcnt1_i32_b32 s11, s11
	s_wait_alu 0xfffe
	v_mov_b32_e32 v2, s11
	global_wb scope:SCOPE_SYS
	s_wait_loadcnt 0x0
	s_wait_storecnt 0x0
	global_atomic_add_u64 v[0:1], v[2:3], off offset:8 scope:SCOPE_SYS
.LBB6_203:
	s_or_b32 exec_lo, exec_lo, s10
	s_wait_loadcnt 0x0
	global_load_b64 v[2:3], v[0:1], off offset:16
	s_wait_loadcnt 0x0
	v_cmp_eq_u64_e32 vcc_lo, 0, v[2:3]
	s_cbranch_vccnz .LBB6_205
; %bb.204:
	global_load_b32 v0, v[0:1], off offset:24
	v_mov_b32_e32 v1, 0
	s_wait_loadcnt 0x0
	v_readfirstlane_b32 s10, v0
	global_wb scope:SCOPE_SYS
	s_wait_storecnt 0x0
	global_store_b64 v[2:3], v[0:1], off scope:SCOPE_SYS
	s_and_b32 m0, s10, 0xffffff
	s_sendmsg sendmsg(MSG_INTERRUPT)
.LBB6_205:
	s_wait_alu 0xfffe
	s_or_b32 exec_lo, exec_lo, s3
	s_branch .LBB6_209
.LBB6_206:                              ;   in Loop: Header=BB6_209 Depth=1
	s_wait_alu 0xfffe
	s_or_b32 exec_lo, exec_lo, s3
	s_delay_alu instid0(VALU_DEP_1)
	v_readfirstlane_b32 s3, v0
	s_cmp_eq_u32 s3, 0
	s_cbranch_scc1 .LBB6_208
; %bb.207:                              ;   in Loop: Header=BB6_209 Depth=1
	s_sleep 1
	s_cbranch_execnz .LBB6_209
	s_branch .LBB6_211
.LBB6_208:
	s_branch .LBB6_211
.LBB6_209:                              ; =>This Inner Loop Header: Depth=1
	v_mov_b32_e32 v0, 1
	s_and_saveexec_b32 s3, s2
	s_cbranch_execz .LBB6_206
; %bb.210:                              ;   in Loop: Header=BB6_209 Depth=1
	global_load_b32 v0, v[8:9], off offset:20 scope:SCOPE_SYS
	s_wait_loadcnt 0x0
	global_inv scope:SCOPE_SYS
	v_and_b32_e32 v0, 1, v0
	s_branch .LBB6_206
.LBB6_211:
	s_and_saveexec_b32 s10, s2
	s_cbranch_execz .LBB6_215
; %bb.212:
	v_mov_b32_e32 v6, 0
	s_clause 0x2
	global_load_b64 v[0:1], v6, s[6:7] offset:40
	global_load_b64 v[9:10], v6, s[6:7] offset:24 scope:SCOPE_SYS
	global_load_b64 v[2:3], v6, s[6:7]
	s_wait_loadcnt 0x2
	v_readfirstlane_b32 s12, v0
	v_readfirstlane_b32 s13, v1
	s_add_nc_u64 s[2:3], s[12:13], 1
	s_wait_alu 0xfffe
	s_add_nc_u64 s[8:9], s[2:3], s[8:9]
	s_wait_alu 0xfffe
	s_cmp_eq_u64 s[8:9], 0
	s_cselect_b32 s3, s3, s9
	s_cselect_b32 s2, s2, s8
	s_wait_alu 0xfffe
	v_mov_b32_e32 v8, s3
	s_and_b64 s[8:9], s[2:3], s[12:13]
	v_mov_b32_e32 v7, s2
	s_wait_alu 0xfffe
	s_mul_u64 s[8:9], s[8:9], 24
	s_wait_loadcnt 0x0
	s_wait_alu 0xfffe
	v_add_co_u32 v4, vcc_lo, v2, s8
	s_wait_alu 0xfffd
	v_add_co_ci_u32_e64 v5, null, s9, v3, vcc_lo
	global_store_b64 v[4:5], v[9:10], off
	global_wb scope:SCOPE_SYS
	s_wait_storecnt 0x0
	global_atomic_cmpswap_b64 v[2:3], v6, v[7:10], s[6:7] offset:24 th:TH_ATOMIC_RETURN scope:SCOPE_SYS
	s_wait_loadcnt 0x0
	v_cmp_ne_u64_e32 vcc_lo, v[2:3], v[9:10]
	s_and_b32 exec_lo, exec_lo, vcc_lo
	s_cbranch_execz .LBB6_215
; %bb.213:
	s_mov_b32 s8, 0
.LBB6_214:                              ; =>This Inner Loop Header: Depth=1
	v_dual_mov_b32 v0, s2 :: v_dual_mov_b32 v1, s3
	s_sleep 1
	global_store_b64 v[4:5], v[2:3], off
	global_wb scope:SCOPE_SYS
	s_wait_storecnt 0x0
	global_atomic_cmpswap_b64 v[0:1], v6, v[0:3], s[6:7] offset:24 th:TH_ATOMIC_RETURN scope:SCOPE_SYS
	s_wait_loadcnt 0x0
	v_cmp_eq_u64_e32 vcc_lo, v[0:1], v[2:3]
	v_dual_mov_b32 v3, v1 :: v_dual_mov_b32 v2, v0
	s_wait_alu 0xfffe
	s_or_b32 s8, vcc_lo, s8
	s_wait_alu 0xfffe
	s_and_not1_b32 exec_lo, exec_lo, s8
	s_cbranch_execnz .LBB6_214
.LBB6_215:
	s_wait_alu 0xfffe
	s_or_b32 exec_lo, exec_lo, s10
	v_readfirstlane_b32 s2, v33
	v_mov_b32_e32 v6, 0
	v_mov_b32_e32 v7, 0
	s_wait_alu 0xf1ff
	s_delay_alu instid0(VALU_DEP_3)
	v_cmp_eq_u32_e64 s2, s2, v33
	s_and_saveexec_b32 s3, s2
	s_cbranch_execz .LBB6_221
; %bb.216:
	v_mov_b32_e32 v0, 0
	s_mov_b32 s8, exec_lo
	global_load_b64 v[3:4], v0, s[6:7] offset:24 scope:SCOPE_SYS
	s_wait_loadcnt 0x0
	global_inv scope:SCOPE_SYS
	s_clause 0x1
	global_load_b64 v[1:2], v0, s[6:7] offset:40
	global_load_b64 v[5:6], v0, s[6:7]
	s_wait_loadcnt 0x1
	v_and_b32_e32 v2, v2, v4
	v_and_b32_e32 v1, v1, v3
	s_delay_alu instid0(VALU_DEP_2) | instskip(NEXT) | instid1(VALU_DEP_2)
	v_mul_lo_u32 v2, 24, v2
	v_mul_lo_u32 v7, 0, v1
	v_mul_hi_u32 v8, 24, v1
	v_mul_lo_u32 v1, 24, v1
	s_delay_alu instid0(VALU_DEP_3) | instskip(SKIP_1) | instid1(VALU_DEP_2)
	v_add_nc_u32_e32 v2, v2, v7
	s_wait_loadcnt 0x0
	v_add_co_u32 v1, vcc_lo, v5, v1
	s_delay_alu instid0(VALU_DEP_2) | instskip(SKIP_1) | instid1(VALU_DEP_1)
	v_add_nc_u32_e32 v2, v2, v8
	s_wait_alu 0xfffd
	v_add_co_ci_u32_e64 v2, null, v6, v2, vcc_lo
	global_load_b64 v[1:2], v[1:2], off scope:SCOPE_SYS
	s_wait_loadcnt 0x0
	global_atomic_cmpswap_b64 v[6:7], v0, v[1:4], s[6:7] offset:24 th:TH_ATOMIC_RETURN scope:SCOPE_SYS
	s_wait_loadcnt 0x0
	global_inv scope:SCOPE_SYS
	v_cmpx_ne_u64_e64 v[6:7], v[3:4]
	s_cbranch_execz .LBB6_220
; %bb.217:
	s_mov_b32 s9, 0
.LBB6_218:                              ; =>This Inner Loop Header: Depth=1
	s_sleep 1
	s_clause 0x1
	global_load_b64 v[1:2], v0, s[6:7] offset:40
	global_load_b64 v[8:9], v0, s[6:7]
	v_dual_mov_b32 v3, v6 :: v_dual_mov_b32 v4, v7
	s_wait_loadcnt 0x1
	s_delay_alu instid0(VALU_DEP_1) | instskip(NEXT) | instid1(VALU_DEP_2)
	v_and_b32_e32 v1, v1, v3
	v_and_b32_e32 v2, v2, v4
	s_wait_loadcnt 0x0
	s_delay_alu instid0(VALU_DEP_2) | instskip(NEXT) | instid1(VALU_DEP_1)
	v_mad_co_u64_u32 v[5:6], null, v1, 24, v[8:9]
	v_mov_b32_e32 v1, v6
	s_delay_alu instid0(VALU_DEP_1) | instskip(NEXT) | instid1(VALU_DEP_1)
	v_mad_co_u64_u32 v[1:2], null, v2, 24, v[1:2]
	v_mov_b32_e32 v6, v1
	global_load_b64 v[1:2], v[5:6], off scope:SCOPE_SYS
	s_wait_loadcnt 0x0
	global_atomic_cmpswap_b64 v[6:7], v0, v[1:4], s[6:7] offset:24 th:TH_ATOMIC_RETURN scope:SCOPE_SYS
	s_wait_loadcnt 0x0
	global_inv scope:SCOPE_SYS
	v_cmp_eq_u64_e32 vcc_lo, v[6:7], v[3:4]
	s_wait_alu 0xfffe
	s_or_b32 s9, vcc_lo, s9
	s_wait_alu 0xfffe
	s_and_not1_b32 exec_lo, exec_lo, s9
	s_cbranch_execnz .LBB6_218
; %bb.219:
	s_or_b32 exec_lo, exec_lo, s9
.LBB6_220:
	s_wait_alu 0xfffe
	s_or_b32 exec_lo, exec_lo, s8
.LBB6_221:
	s_wait_alu 0xfffe
	s_or_b32 exec_lo, exec_lo, s3
	v_readfirstlane_b32 s8, v6
	v_mov_b32_e32 v5, 0
	v_readfirstlane_b32 s9, v7
	s_mov_b32 s3, exec_lo
	s_clause 0x1
	global_load_b64 v[8:9], v5, s[6:7] offset:40
	global_load_b128 v[0:3], v5, s[6:7]
	s_wait_loadcnt 0x1
	s_wait_alu 0xf1ff
	v_and_b32_e32 v11, s9, v9
	v_and_b32_e32 v10, s8, v8
	s_delay_alu instid0(VALU_DEP_2) | instskip(NEXT) | instid1(VALU_DEP_2)
	v_mul_lo_u32 v4, 24, v11
	v_mul_lo_u32 v6, 0, v10
	v_mul_hi_u32 v7, 24, v10
	v_mul_lo_u32 v8, 24, v10
	s_delay_alu instid0(VALU_DEP_3) | instskip(SKIP_1) | instid1(VALU_DEP_2)
	v_add_nc_u32_e32 v4, v4, v6
	s_wait_loadcnt 0x0
	v_add_co_u32 v8, vcc_lo, v0, v8
	s_delay_alu instid0(VALU_DEP_2) | instskip(SKIP_1) | instid1(VALU_DEP_1)
	v_add_nc_u32_e32 v4, v4, v7
	s_wait_alu 0xfffd
	v_add_co_ci_u32_e64 v9, null, v1, v4, vcc_lo
	s_and_saveexec_b32 s10, s2
	s_cbranch_execz .LBB6_223
; %bb.222:
	s_wait_alu 0xfffe
	v_dual_mov_b32 v4, s3 :: v_dual_mov_b32 v7, 1
	v_mov_b32_e32 v6, 2
	global_store_b128 v[8:9], v[4:7], off offset:8
.LBB6_223:
	s_wait_alu 0xfffe
	s_or_b32 exec_lo, exec_lo, s10
	v_lshlrev_b64_e32 v[10:11], 12, v[10:11]
	s_mov_b32 s12, 0
	v_dual_mov_b32 v4, 33 :: v_dual_mov_b32 v7, v5
	s_wait_alu 0xfffe
	s_mov_b32 s13, s12
	s_mov_b32 s14, s12
	v_add_co_u32 v2, vcc_lo, v2, v10
	s_wait_alu 0xfffd
	v_add_co_ci_u32_e64 v3, null, v3, v11, vcc_lo
	s_mov_b32 s15, s12
	v_add_co_u32 v10, vcc_lo, v2, v32
	v_mov_b32_e32 v6, v5
	v_readfirstlane_b32 s10, v2
	v_readfirstlane_b32 s11, v3
	s_wait_alu 0xfffe
	v_dual_mov_b32 v12, s12 :: v_dual_mov_b32 v15, s15
	s_wait_alu 0xfffd
	v_add_co_ci_u32_e64 v11, null, 0, v3, vcc_lo
	v_dual_mov_b32 v13, s13 :: v_dual_mov_b32 v14, s14
	s_clause 0x3
	global_store_b128 v32, v[4:7], s[10:11]
	global_store_b128 v32, v[12:15], s[10:11] offset:16
	global_store_b128 v32, v[12:15], s[10:11] offset:32
	;; [unrolled: 1-line block ×3, first 2 shown]
	s_and_saveexec_b32 s3, s2
	s_cbranch_execz .LBB6_231
; %bb.224:
	v_mov_b32_e32 v6, 0
	s_mov_b32 s10, exec_lo
	s_clause 0x1
	global_load_b64 v[14:15], v6, s[6:7] offset:32 scope:SCOPE_SYS
	global_load_b64 v[2:3], v6, s[6:7] offset:40
	v_dual_mov_b32 v13, s9 :: v_dual_mov_b32 v12, s8
	s_wait_loadcnt 0x0
	v_and_b32_e32 v3, s9, v3
	v_and_b32_e32 v2, s8, v2
	s_delay_alu instid0(VALU_DEP_2) | instskip(NEXT) | instid1(VALU_DEP_2)
	v_mul_lo_u32 v3, 24, v3
	v_mul_lo_u32 v4, 0, v2
	v_mul_hi_u32 v5, 24, v2
	v_mul_lo_u32 v2, 24, v2
	s_delay_alu instid0(VALU_DEP_3) | instskip(NEXT) | instid1(VALU_DEP_2)
	v_add_nc_u32_e32 v3, v3, v4
	v_add_co_u32 v4, vcc_lo, v0, v2
	s_delay_alu instid0(VALU_DEP_2) | instskip(SKIP_1) | instid1(VALU_DEP_1)
	v_add_nc_u32_e32 v3, v3, v5
	s_wait_alu 0xfffd
	v_add_co_ci_u32_e64 v5, null, v1, v3, vcc_lo
	global_store_b64 v[4:5], v[14:15], off
	global_wb scope:SCOPE_SYS
	s_wait_storecnt 0x0
	global_atomic_cmpswap_b64 v[2:3], v6, v[12:15], s[6:7] offset:32 th:TH_ATOMIC_RETURN scope:SCOPE_SYS
	s_wait_loadcnt 0x0
	v_cmpx_ne_u64_e64 v[2:3], v[14:15]
	s_cbranch_execz .LBB6_227
; %bb.225:
	s_mov_b32 s11, 0
.LBB6_226:                              ; =>This Inner Loop Header: Depth=1
	v_dual_mov_b32 v0, s8 :: v_dual_mov_b32 v1, s9
	s_sleep 1
	global_store_b64 v[4:5], v[2:3], off
	global_wb scope:SCOPE_SYS
	s_wait_storecnt 0x0
	global_atomic_cmpswap_b64 v[0:1], v6, v[0:3], s[6:7] offset:32 th:TH_ATOMIC_RETURN scope:SCOPE_SYS
	s_wait_loadcnt 0x0
	v_cmp_eq_u64_e32 vcc_lo, v[0:1], v[2:3]
	v_dual_mov_b32 v3, v1 :: v_dual_mov_b32 v2, v0
	s_wait_alu 0xfffe
	s_or_b32 s11, vcc_lo, s11
	s_wait_alu 0xfffe
	s_and_not1_b32 exec_lo, exec_lo, s11
	s_cbranch_execnz .LBB6_226
.LBB6_227:
	s_wait_alu 0xfffe
	s_or_b32 exec_lo, exec_lo, s10
	v_mov_b32_e32 v3, 0
	s_mov_b32 s11, exec_lo
	s_mov_b32 s10, exec_lo
	s_wait_alu 0xfffe
	v_mbcnt_lo_u32_b32 v2, s11, 0
	global_load_b64 v[0:1], v3, s[6:7] offset:16
	v_cmpx_eq_u32_e32 0, v2
	s_cbranch_execz .LBB6_229
; %bb.228:
	s_bcnt1_i32_b32 s11, s11
	s_wait_alu 0xfffe
	v_mov_b32_e32 v2, s11
	global_wb scope:SCOPE_SYS
	s_wait_loadcnt 0x0
	s_wait_storecnt 0x0
	global_atomic_add_u64 v[0:1], v[2:3], off offset:8 scope:SCOPE_SYS
.LBB6_229:
	s_or_b32 exec_lo, exec_lo, s10
	s_wait_loadcnt 0x0
	global_load_b64 v[2:3], v[0:1], off offset:16
	s_wait_loadcnt 0x0
	v_cmp_eq_u64_e32 vcc_lo, 0, v[2:3]
	s_cbranch_vccnz .LBB6_231
; %bb.230:
	global_load_b32 v0, v[0:1], off offset:24
	v_mov_b32_e32 v1, 0
	s_wait_loadcnt 0x0
	v_readfirstlane_b32 s10, v0
	global_wb scope:SCOPE_SYS
	s_wait_storecnt 0x0
	global_store_b64 v[2:3], v[0:1], off scope:SCOPE_SYS
	s_and_b32 m0, s10, 0xffffff
	s_sendmsg sendmsg(MSG_INTERRUPT)
.LBB6_231:
	s_wait_alu 0xfffe
	s_or_b32 exec_lo, exec_lo, s3
	s_branch .LBB6_235
.LBB6_232:                              ;   in Loop: Header=BB6_235 Depth=1
	s_wait_alu 0xfffe
	s_or_b32 exec_lo, exec_lo, s3
	s_delay_alu instid0(VALU_DEP_1)
	v_readfirstlane_b32 s3, v0
	s_cmp_eq_u32 s3, 0
	s_cbranch_scc1 .LBB6_234
; %bb.233:                              ;   in Loop: Header=BB6_235 Depth=1
	s_sleep 1
	s_cbranch_execnz .LBB6_235
	s_branch .LBB6_237
.LBB6_234:
	s_branch .LBB6_237
.LBB6_235:                              ; =>This Inner Loop Header: Depth=1
	v_mov_b32_e32 v0, 1
	s_and_saveexec_b32 s3, s2
	s_cbranch_execz .LBB6_232
; %bb.236:                              ;   in Loop: Header=BB6_235 Depth=1
	global_load_b32 v0, v[8:9], off offset:20 scope:SCOPE_SYS
	s_wait_loadcnt 0x0
	global_inv scope:SCOPE_SYS
	v_and_b32_e32 v0, 1, v0
	s_branch .LBB6_232
.LBB6_237:
	global_load_b64 v[0:1], v[10:11], off
	s_and_saveexec_b32 s10, s2
	s_cbranch_execz .LBB6_241
; %bb.238:
	v_mov_b32_e32 v8, 0
	s_clause 0x2
	global_load_b64 v[2:3], v8, s[6:7] offset:40
	global_load_b64 v[11:12], v8, s[6:7] offset:24 scope:SCOPE_SYS
	global_load_b64 v[4:5], v8, s[6:7]
	s_wait_loadcnt 0x2
	v_readfirstlane_b32 s12, v2
	v_readfirstlane_b32 s13, v3
	s_add_nc_u64 s[2:3], s[12:13], 1
	s_wait_alu 0xfffe
	s_add_nc_u64 s[8:9], s[2:3], s[8:9]
	s_wait_alu 0xfffe
	s_cmp_eq_u64 s[8:9], 0
	s_cselect_b32 s3, s3, s9
	s_cselect_b32 s2, s2, s8
	s_wait_alu 0xfffe
	v_mov_b32_e32 v10, s3
	s_and_b64 s[8:9], s[2:3], s[12:13]
	v_mov_b32_e32 v9, s2
	s_wait_alu 0xfffe
	s_mul_u64 s[8:9], s[8:9], 24
	s_wait_loadcnt 0x0
	s_wait_alu 0xfffe
	v_add_co_u32 v6, vcc_lo, v4, s8
	s_wait_alu 0xfffd
	v_add_co_ci_u32_e64 v7, null, s9, v5, vcc_lo
	global_store_b64 v[6:7], v[11:12], off
	global_wb scope:SCOPE_SYS
	s_wait_storecnt 0x0
	global_atomic_cmpswap_b64 v[4:5], v8, v[9:12], s[6:7] offset:24 th:TH_ATOMIC_RETURN scope:SCOPE_SYS
	s_wait_loadcnt 0x0
	v_cmp_ne_u64_e32 vcc_lo, v[4:5], v[11:12]
	s_and_b32 exec_lo, exec_lo, vcc_lo
	s_cbranch_execz .LBB6_241
; %bb.239:
	s_mov_b32 s8, 0
.LBB6_240:                              ; =>This Inner Loop Header: Depth=1
	v_dual_mov_b32 v2, s2 :: v_dual_mov_b32 v3, s3
	s_sleep 1
	global_store_b64 v[6:7], v[4:5], off
	global_wb scope:SCOPE_SYS
	s_wait_storecnt 0x0
	global_atomic_cmpswap_b64 v[2:3], v8, v[2:5], s[6:7] offset:24 th:TH_ATOMIC_RETURN scope:SCOPE_SYS
	s_wait_loadcnt 0x0
	v_cmp_eq_u64_e32 vcc_lo, v[2:3], v[4:5]
	v_dual_mov_b32 v5, v3 :: v_dual_mov_b32 v4, v2
	s_wait_alu 0xfffe
	s_or_b32 s8, vcc_lo, s8
	s_wait_alu 0xfffe
	s_and_not1_b32 exec_lo, exec_lo, s8
	s_cbranch_execnz .LBB6_240
.LBB6_241:
	s_wait_alu 0xfffe
	s_or_b32 exec_lo, exec_lo, s10
	s_getpc_b64 s[8:9]
	s_wait_alu 0xfffe
	s_sext_i32_i16 s9, s9
	s_add_co_u32 s8, s8, .str.1@rel32@lo+12
	s_wait_alu 0xfffe
	s_add_co_ci_u32 s9, s9, .str.1@rel32@hi+24
	s_wait_alu 0xfffe
	s_cmp_lg_u64 s[8:9], 0
	s_cbranch_scc0 .LBB6_320
; %bb.242:
	s_wait_loadcnt 0x0
	v_dual_mov_b32 v7, 0 :: v_dual_and_b32 v34, 2, v0
	v_dual_mov_b32 v3, v1 :: v_dual_and_b32 v2, -3, v0
	v_dual_mov_b32 v8, 2 :: v_dual_mov_b32 v9, 1
	s_mov_b64 s[10:11], 48
	s_branch .LBB6_244
.LBB6_243:                              ;   in Loop: Header=BB6_244 Depth=1
	s_wait_alu 0xfffe
	s_or_b32 exec_lo, exec_lo, s16
	s_sub_nc_u64 s[10:11], s[10:11], s[12:13]
	s_add_nc_u64 s[8:9], s[8:9], s[12:13]
	s_wait_alu 0xfffe
	s_cmp_lg_u64 s[10:11], 0
	s_cbranch_scc0 .LBB6_319
.LBB6_244:                              ; =>This Loop Header: Depth=1
                                        ;     Child Loop BB6_247 Depth 2
                                        ;     Child Loop BB6_254 Depth 2
	;; [unrolled: 1-line block ×11, first 2 shown]
	s_wait_alu 0xfffe
	v_cmp_lt_u64_e64 s2, s[10:11], 56
	v_cmp_gt_u64_e64 s3, s[10:11], 7
	s_and_b32 s2, s2, exec_lo
	s_cselect_b32 s13, s11, 0
	s_cselect_b32 s12, s10, 56
	s_and_b32 vcc_lo, exec_lo, s3
	s_wait_alu 0xfffe
	s_cbranch_vccnz .LBB6_249
; %bb.245:                              ;   in Loop: Header=BB6_244 Depth=1
	v_mov_b32_e32 v4, 0
	v_mov_b32_e32 v5, 0
	s_cmp_eq_u64 s[10:11], 0
	s_cbranch_scc1 .LBB6_248
; %bb.246:                              ;   in Loop: Header=BB6_244 Depth=1
	s_mov_b64 s[2:3], 0
	s_mov_b64 s[14:15], 0
.LBB6_247:                              ;   Parent Loop BB6_244 Depth=1
                                        ; =>  This Inner Loop Header: Depth=2
	s_wait_alu 0xfffe
	s_add_nc_u64 s[16:17], s[8:9], s[14:15]
	s_add_nc_u64 s[14:15], s[14:15], 1
	global_load_u8 v6, v7, s[16:17]
	s_wait_alu 0xfffe
	s_cmp_lg_u32 s12, s14
	s_wait_loadcnt 0x0
	v_and_b32_e32 v6, 0xffff, v6
	s_delay_alu instid0(VALU_DEP_1) | instskip(SKIP_1) | instid1(VALU_DEP_1)
	v_lshlrev_b64_e32 v[10:11], s2, v[6:7]
	s_add_nc_u64 s[2:3], s[2:3], 8
	v_or_b32_e32 v4, v10, v4
	s_delay_alu instid0(VALU_DEP_2)
	v_or_b32_e32 v5, v11, v5
	s_cbranch_scc1 .LBB6_247
.LBB6_248:                              ;   in Loop: Header=BB6_244 Depth=1
	s_mov_b64 s[14:15], s[8:9]
	s_mov_b32 s18, 0
	s_cbranch_execz .LBB6_250
	s_branch .LBB6_251
.LBB6_249:                              ;   in Loop: Header=BB6_244 Depth=1
	s_add_nc_u64 s[14:15], s[8:9], 8
	s_mov_b32 s18, 0
.LBB6_250:                              ;   in Loop: Header=BB6_244 Depth=1
	global_load_b64 v[4:5], v7, s[8:9]
	s_add_co_i32 s18, s12, -8
.LBB6_251:                              ;   in Loop: Header=BB6_244 Depth=1
	s_wait_alu 0xfffe
	s_cmp_gt_u32 s18, 7
	s_cbranch_scc1 .LBB6_256
; %bb.252:                              ;   in Loop: Header=BB6_244 Depth=1
	v_mov_b32_e32 v10, 0
	v_mov_b32_e32 v11, 0
	s_cmp_eq_u32 s18, 0
	s_cbranch_scc1 .LBB6_255
; %bb.253:                              ;   in Loop: Header=BB6_244 Depth=1
	s_mov_b64 s[2:3], 0
	s_mov_b64 s[16:17], 0
.LBB6_254:                              ;   Parent Loop BB6_244 Depth=1
                                        ; =>  This Inner Loop Header: Depth=2
	s_wait_alu 0xfffe
	s_add_nc_u64 s[24:25], s[14:15], s[16:17]
	s_add_nc_u64 s[16:17], s[16:17], 1
	global_load_u8 v6, v7, s[24:25]
	s_wait_alu 0xfffe
	s_cmp_lg_u32 s18, s16
	s_wait_loadcnt 0x0
	v_and_b32_e32 v6, 0xffff, v6
	s_delay_alu instid0(VALU_DEP_1) | instskip(SKIP_1) | instid1(VALU_DEP_1)
	v_lshlrev_b64_e32 v[12:13], s2, v[6:7]
	s_add_nc_u64 s[2:3], s[2:3], 8
	v_or_b32_e32 v10, v12, v10
	s_delay_alu instid0(VALU_DEP_2)
	v_or_b32_e32 v11, v13, v11
	s_cbranch_scc1 .LBB6_254
.LBB6_255:                              ;   in Loop: Header=BB6_244 Depth=1
	s_mov_b64 s[2:3], s[14:15]
	s_mov_b32 s19, 0
	s_cbranch_execz .LBB6_257
	s_branch .LBB6_258
.LBB6_256:                              ;   in Loop: Header=BB6_244 Depth=1
	s_add_nc_u64 s[2:3], s[14:15], 8
                                        ; implicit-def: $vgpr10_vgpr11
	s_mov_b32 s19, 0
.LBB6_257:                              ;   in Loop: Header=BB6_244 Depth=1
	global_load_b64 v[10:11], v7, s[14:15]
	s_add_co_i32 s19, s18, -8
.LBB6_258:                              ;   in Loop: Header=BB6_244 Depth=1
	s_wait_alu 0xfffe
	s_cmp_gt_u32 s19, 7
	s_cbranch_scc1 .LBB6_263
; %bb.259:                              ;   in Loop: Header=BB6_244 Depth=1
	v_mov_b32_e32 v12, 0
	v_mov_b32_e32 v13, 0
	s_cmp_eq_u32 s19, 0
	s_cbranch_scc1 .LBB6_262
; %bb.260:                              ;   in Loop: Header=BB6_244 Depth=1
	s_mov_b64 s[14:15], 0
	s_mov_b64 s[16:17], 0
.LBB6_261:                              ;   Parent Loop BB6_244 Depth=1
                                        ; =>  This Inner Loop Header: Depth=2
	s_wait_alu 0xfffe
	s_add_nc_u64 s[24:25], s[2:3], s[16:17]
	s_add_nc_u64 s[16:17], s[16:17], 1
	global_load_u8 v6, v7, s[24:25]
	s_wait_alu 0xfffe
	s_cmp_lg_u32 s19, s16
	s_wait_loadcnt 0x0
	v_and_b32_e32 v6, 0xffff, v6
	s_delay_alu instid0(VALU_DEP_1) | instskip(SKIP_1) | instid1(VALU_DEP_1)
	v_lshlrev_b64_e32 v[14:15], s14, v[6:7]
	s_add_nc_u64 s[14:15], s[14:15], 8
	v_or_b32_e32 v12, v14, v12
	s_delay_alu instid0(VALU_DEP_2)
	v_or_b32_e32 v13, v15, v13
	s_cbranch_scc1 .LBB6_261
.LBB6_262:                              ;   in Loop: Header=BB6_244 Depth=1
	s_mov_b64 s[14:15], s[2:3]
	s_mov_b32 s18, 0
	s_cbranch_execz .LBB6_264
	s_branch .LBB6_265
.LBB6_263:                              ;   in Loop: Header=BB6_244 Depth=1
	s_add_nc_u64 s[14:15], s[2:3], 8
	s_mov_b32 s18, 0
.LBB6_264:                              ;   in Loop: Header=BB6_244 Depth=1
	global_load_b64 v[12:13], v7, s[2:3]
	s_add_co_i32 s18, s19, -8
.LBB6_265:                              ;   in Loop: Header=BB6_244 Depth=1
	s_wait_alu 0xfffe
	s_cmp_gt_u32 s18, 7
	s_cbranch_scc1 .LBB6_270
; %bb.266:                              ;   in Loop: Header=BB6_244 Depth=1
	v_mov_b32_e32 v14, 0
	v_mov_b32_e32 v15, 0
	s_cmp_eq_u32 s18, 0
	s_cbranch_scc1 .LBB6_269
; %bb.267:                              ;   in Loop: Header=BB6_244 Depth=1
	s_mov_b64 s[2:3], 0
	s_mov_b64 s[16:17], 0
.LBB6_268:                              ;   Parent Loop BB6_244 Depth=1
                                        ; =>  This Inner Loop Header: Depth=2
	s_wait_alu 0xfffe
	s_add_nc_u64 s[24:25], s[14:15], s[16:17]
	s_add_nc_u64 s[16:17], s[16:17], 1
	global_load_u8 v6, v7, s[24:25]
	s_wait_alu 0xfffe
	s_cmp_lg_u32 s18, s16
	s_wait_loadcnt 0x0
	v_and_b32_e32 v6, 0xffff, v6
	s_delay_alu instid0(VALU_DEP_1) | instskip(SKIP_1) | instid1(VALU_DEP_1)
	v_lshlrev_b64_e32 v[16:17], s2, v[6:7]
	s_add_nc_u64 s[2:3], s[2:3], 8
	v_or_b32_e32 v14, v16, v14
	s_delay_alu instid0(VALU_DEP_2)
	v_or_b32_e32 v15, v17, v15
	s_cbranch_scc1 .LBB6_268
.LBB6_269:                              ;   in Loop: Header=BB6_244 Depth=1
	s_mov_b64 s[2:3], s[14:15]
	s_mov_b32 s19, 0
	s_cbranch_execz .LBB6_271
	s_branch .LBB6_272
.LBB6_270:                              ;   in Loop: Header=BB6_244 Depth=1
	s_add_nc_u64 s[2:3], s[14:15], 8
                                        ; implicit-def: $vgpr14_vgpr15
	s_mov_b32 s19, 0
.LBB6_271:                              ;   in Loop: Header=BB6_244 Depth=1
	global_load_b64 v[14:15], v7, s[14:15]
	s_add_co_i32 s19, s18, -8
.LBB6_272:                              ;   in Loop: Header=BB6_244 Depth=1
	s_wait_alu 0xfffe
	s_cmp_gt_u32 s19, 7
	s_cbranch_scc1 .LBB6_277
; %bb.273:                              ;   in Loop: Header=BB6_244 Depth=1
	v_mov_b32_e32 v16, 0
	v_mov_b32_e32 v17, 0
	s_cmp_eq_u32 s19, 0
	s_cbranch_scc1 .LBB6_276
; %bb.274:                              ;   in Loop: Header=BB6_244 Depth=1
	s_mov_b64 s[14:15], 0
	s_mov_b64 s[16:17], 0
.LBB6_275:                              ;   Parent Loop BB6_244 Depth=1
                                        ; =>  This Inner Loop Header: Depth=2
	s_wait_alu 0xfffe
	s_add_nc_u64 s[24:25], s[2:3], s[16:17]
	s_add_nc_u64 s[16:17], s[16:17], 1
	global_load_u8 v6, v7, s[24:25]
	s_wait_alu 0xfffe
	s_cmp_lg_u32 s19, s16
	s_wait_loadcnt 0x0
	v_and_b32_e32 v6, 0xffff, v6
	s_delay_alu instid0(VALU_DEP_1) | instskip(SKIP_1) | instid1(VALU_DEP_1)
	v_lshlrev_b64_e32 v[18:19], s14, v[6:7]
	s_add_nc_u64 s[14:15], s[14:15], 8
	v_or_b32_e32 v16, v18, v16
	s_delay_alu instid0(VALU_DEP_2)
	v_or_b32_e32 v17, v19, v17
	s_cbranch_scc1 .LBB6_275
.LBB6_276:                              ;   in Loop: Header=BB6_244 Depth=1
	s_mov_b64 s[14:15], s[2:3]
	s_mov_b32 s18, 0
	s_cbranch_execz .LBB6_278
	s_branch .LBB6_279
.LBB6_277:                              ;   in Loop: Header=BB6_244 Depth=1
	s_add_nc_u64 s[14:15], s[2:3], 8
	s_mov_b32 s18, 0
.LBB6_278:                              ;   in Loop: Header=BB6_244 Depth=1
	global_load_b64 v[16:17], v7, s[2:3]
	s_add_co_i32 s18, s19, -8
.LBB6_279:                              ;   in Loop: Header=BB6_244 Depth=1
	s_wait_alu 0xfffe
	s_cmp_gt_u32 s18, 7
	s_cbranch_scc1 .LBB6_284
; %bb.280:                              ;   in Loop: Header=BB6_244 Depth=1
	v_mov_b32_e32 v18, 0
	v_mov_b32_e32 v19, 0
	s_cmp_eq_u32 s18, 0
	s_cbranch_scc1 .LBB6_283
; %bb.281:                              ;   in Loop: Header=BB6_244 Depth=1
	s_mov_b64 s[2:3], 0
	s_mov_b64 s[16:17], 0
.LBB6_282:                              ;   Parent Loop BB6_244 Depth=1
                                        ; =>  This Inner Loop Header: Depth=2
	s_wait_alu 0xfffe
	s_add_nc_u64 s[24:25], s[14:15], s[16:17]
	s_add_nc_u64 s[16:17], s[16:17], 1
	global_load_u8 v6, v7, s[24:25]
	s_wait_alu 0xfffe
	s_cmp_lg_u32 s18, s16
	s_wait_loadcnt 0x0
	v_and_b32_e32 v6, 0xffff, v6
	s_delay_alu instid0(VALU_DEP_1) | instskip(SKIP_1) | instid1(VALU_DEP_1)
	v_lshlrev_b64_e32 v[20:21], s2, v[6:7]
	s_add_nc_u64 s[2:3], s[2:3], 8
	v_or_b32_e32 v18, v20, v18
	s_delay_alu instid0(VALU_DEP_2)
	v_or_b32_e32 v19, v21, v19
	s_cbranch_scc1 .LBB6_282
.LBB6_283:                              ;   in Loop: Header=BB6_244 Depth=1
	s_mov_b64 s[2:3], s[14:15]
	s_mov_b32 s19, 0
	s_cbranch_execz .LBB6_285
	s_branch .LBB6_286
.LBB6_284:                              ;   in Loop: Header=BB6_244 Depth=1
	s_add_nc_u64 s[2:3], s[14:15], 8
                                        ; implicit-def: $vgpr18_vgpr19
	s_mov_b32 s19, 0
.LBB6_285:                              ;   in Loop: Header=BB6_244 Depth=1
	global_load_b64 v[18:19], v7, s[14:15]
	s_add_co_i32 s19, s18, -8
.LBB6_286:                              ;   in Loop: Header=BB6_244 Depth=1
	s_wait_alu 0xfffe
	s_cmp_gt_u32 s19, 7
	s_cbranch_scc1 .LBB6_291
; %bb.287:                              ;   in Loop: Header=BB6_244 Depth=1
	v_mov_b32_e32 v20, 0
	v_mov_b32_e32 v21, 0
	s_cmp_eq_u32 s19, 0
	s_cbranch_scc1 .LBB6_290
; %bb.288:                              ;   in Loop: Header=BB6_244 Depth=1
	s_mov_b64 s[14:15], 0
	s_mov_b64 s[16:17], s[2:3]
.LBB6_289:                              ;   Parent Loop BB6_244 Depth=1
                                        ; =>  This Inner Loop Header: Depth=2
	global_load_u8 v6, v7, s[16:17]
	s_add_co_i32 s19, s19, -1
	s_wait_alu 0xfffe
	s_add_nc_u64 s[16:17], s[16:17], 1
	s_cmp_lg_u32 s19, 0
	s_wait_loadcnt 0x0
	v_and_b32_e32 v6, 0xffff, v6
	s_delay_alu instid0(VALU_DEP_1) | instskip(SKIP_1) | instid1(VALU_DEP_1)
	v_lshlrev_b64_e32 v[22:23], s14, v[6:7]
	s_add_nc_u64 s[14:15], s[14:15], 8
	v_or_b32_e32 v20, v22, v20
	s_delay_alu instid0(VALU_DEP_2)
	v_or_b32_e32 v21, v23, v21
	s_cbranch_scc1 .LBB6_289
.LBB6_290:                              ;   in Loop: Header=BB6_244 Depth=1
	s_cbranch_execz .LBB6_292
	s_branch .LBB6_293
.LBB6_291:                              ;   in Loop: Header=BB6_244 Depth=1
.LBB6_292:                              ;   in Loop: Header=BB6_244 Depth=1
	global_load_b64 v[20:21], v7, s[2:3]
.LBB6_293:                              ;   in Loop: Header=BB6_244 Depth=1
	v_readfirstlane_b32 s2, v33
	v_mov_b32_e32 v27, 0
	v_mov_b32_e32 v28, 0
	s_wait_alu 0xf1ff
	s_delay_alu instid0(VALU_DEP_3)
	v_cmp_eq_u32_e64 s2, s2, v33
	s_and_saveexec_b32 s3, s2
	s_cbranch_execz .LBB6_299
; %bb.294:                              ;   in Loop: Header=BB6_244 Depth=1
	global_load_b64 v[24:25], v7, s[6:7] offset:24 scope:SCOPE_SYS
	s_wait_loadcnt 0x0
	global_inv scope:SCOPE_SYS
	s_clause 0x1
	global_load_b64 v[22:23], v7, s[6:7] offset:40
	global_load_b64 v[27:28], v7, s[6:7]
	s_mov_b32 s14, exec_lo
	s_wait_loadcnt 0x1
	v_and_b32_e32 v6, v23, v25
	v_and_b32_e32 v22, v22, v24
	s_delay_alu instid0(VALU_DEP_2) | instskip(NEXT) | instid1(VALU_DEP_2)
	v_mul_lo_u32 v6, 24, v6
	v_mul_lo_u32 v23, 0, v22
	v_mul_hi_u32 v29, 24, v22
	v_mul_lo_u32 v22, 24, v22
	s_delay_alu instid0(VALU_DEP_3) | instskip(SKIP_1) | instid1(VALU_DEP_2)
	v_add_nc_u32_e32 v6, v6, v23
	s_wait_loadcnt 0x0
	v_add_co_u32 v22, vcc_lo, v27, v22
	s_delay_alu instid0(VALU_DEP_2) | instskip(SKIP_1) | instid1(VALU_DEP_1)
	v_add_nc_u32_e32 v6, v6, v29
	s_wait_alu 0xfffd
	v_add_co_ci_u32_e64 v23, null, v28, v6, vcc_lo
	global_load_b64 v[22:23], v[22:23], off scope:SCOPE_SYS
	s_wait_loadcnt 0x0
	global_atomic_cmpswap_b64 v[27:28], v7, v[22:25], s[6:7] offset:24 th:TH_ATOMIC_RETURN scope:SCOPE_SYS
	s_wait_loadcnt 0x0
	global_inv scope:SCOPE_SYS
	v_cmpx_ne_u64_e64 v[27:28], v[24:25]
	s_cbranch_execz .LBB6_298
; %bb.295:                              ;   in Loop: Header=BB6_244 Depth=1
	s_mov_b32 s15, 0
.LBB6_296:                              ;   Parent Loop BB6_244 Depth=1
                                        ; =>  This Inner Loop Header: Depth=2
	s_sleep 1
	s_clause 0x1
	global_load_b64 v[22:23], v7, s[6:7] offset:40
	global_load_b64 v[29:30], v7, s[6:7]
	v_dual_mov_b32 v24, v27 :: v_dual_mov_b32 v25, v28
	s_wait_loadcnt 0x1
	s_delay_alu instid0(VALU_DEP_1) | instskip(NEXT) | instid1(VALU_DEP_2)
	v_and_b32_e32 v6, v22, v24
	v_and_b32_e32 v22, v23, v25
	s_wait_loadcnt 0x0
	s_delay_alu instid0(VALU_DEP_2) | instskip(NEXT) | instid1(VALU_DEP_1)
	v_mad_co_u64_u32 v[27:28], null, v6, 24, v[29:30]
	v_mov_b32_e32 v6, v28
	s_delay_alu instid0(VALU_DEP_1) | instskip(NEXT) | instid1(VALU_DEP_1)
	v_mad_co_u64_u32 v[22:23], null, v22, 24, v[6:7]
	v_mov_b32_e32 v28, v22
	global_load_b64 v[22:23], v[27:28], off scope:SCOPE_SYS
	s_wait_loadcnt 0x0
	global_atomic_cmpswap_b64 v[27:28], v7, v[22:25], s[6:7] offset:24 th:TH_ATOMIC_RETURN scope:SCOPE_SYS
	s_wait_loadcnt 0x0
	global_inv scope:SCOPE_SYS
	v_cmp_eq_u64_e32 vcc_lo, v[27:28], v[24:25]
	s_wait_alu 0xfffe
	s_or_b32 s15, vcc_lo, s15
	s_wait_alu 0xfffe
	s_and_not1_b32 exec_lo, exec_lo, s15
	s_cbranch_execnz .LBB6_296
; %bb.297:                              ;   in Loop: Header=BB6_244 Depth=1
	s_or_b32 exec_lo, exec_lo, s15
.LBB6_298:                              ;   in Loop: Header=BB6_244 Depth=1
	s_wait_alu 0xfffe
	s_or_b32 exec_lo, exec_lo, s14
.LBB6_299:                              ;   in Loop: Header=BB6_244 Depth=1
	s_wait_alu 0xfffe
	s_or_b32 exec_lo, exec_lo, s3
	s_clause 0x1
	global_load_b64 v[29:30], v7, s[6:7] offset:40
	global_load_b128 v[22:25], v7, s[6:7]
	v_readfirstlane_b32 s15, v28
	v_readfirstlane_b32 s14, v27
	s_mov_b32 s3, exec_lo
	s_wait_loadcnt 0x1
	s_wait_alu 0xf1ff
	v_and_b32_e32 v30, s15, v30
	v_and_b32_e32 v29, s14, v29
	s_delay_alu instid0(VALU_DEP_2) | instskip(NEXT) | instid1(VALU_DEP_2)
	v_mul_lo_u32 v6, 24, v30
	v_mul_lo_u32 v27, 0, v29
	v_mul_hi_u32 v28, 24, v29
	v_mul_lo_u32 v35, 24, v29
	s_delay_alu instid0(VALU_DEP_3) | instskip(SKIP_1) | instid1(VALU_DEP_2)
	v_add_nc_u32_e32 v6, v6, v27
	s_wait_loadcnt 0x0
	v_add_co_u32 v27, vcc_lo, v22, v35
	s_delay_alu instid0(VALU_DEP_2) | instskip(SKIP_1) | instid1(VALU_DEP_1)
	v_add_nc_u32_e32 v6, v6, v28
	s_wait_alu 0xfffd
	v_add_co_ci_u32_e64 v28, null, v23, v6, vcc_lo
	s_and_saveexec_b32 s16, s2
	s_cbranch_execz .LBB6_301
; %bb.300:                              ;   in Loop: Header=BB6_244 Depth=1
	s_wait_alu 0xfffe
	v_mov_b32_e32 v6, s3
	global_store_b128 v[27:28], v[6:9], off offset:8
.LBB6_301:                              ;   in Loop: Header=BB6_244 Depth=1
	s_wait_alu 0xfffe
	s_or_b32 exec_lo, exec_lo, s16
	v_cmp_lt_u64_e64 vcc_lo, s[10:11], 57
	v_lshlrev_b64_e32 v[29:30], 12, v[29:30]
	v_and_b32_e32 v2, 0xffffff1f, v2
	s_lshl_b32 s3, s12, 2
	s_wait_alu 0xfffe
	s_add_co_i32 s3, s3, 28
	s_wait_alu 0xfffd
	v_cndmask_b32_e32 v6, 0, v34, vcc_lo
	v_add_co_u32 v24, vcc_lo, v24, v29
	s_wait_alu 0xfffd
	v_add_co_ci_u32_e64 v25, null, v25, v30, vcc_lo
	s_delay_alu instid0(VALU_DEP_3) | instskip(NEXT) | instid1(VALU_DEP_3)
	v_or_b32_e32 v2, v2, v6
	v_readfirstlane_b32 s16, v24
	s_delay_alu instid0(VALU_DEP_3) | instskip(SKIP_1) | instid1(VALU_DEP_3)
	v_readfirstlane_b32 s17, v25
	s_wait_alu 0xfffe
	v_and_or_b32 v2, 0x1e0, s3, v2
	s_clause 0x3
	global_store_b128 v32, v[2:5], s[16:17]
	global_store_b128 v32, v[10:13], s[16:17] offset:16
	global_store_b128 v32, v[14:17], s[16:17] offset:32
	;; [unrolled: 1-line block ×3, first 2 shown]
	s_and_saveexec_b32 s3, s2
	s_cbranch_execz .LBB6_309
; %bb.302:                              ;   in Loop: Header=BB6_244 Depth=1
	s_clause 0x1
	global_load_b64 v[14:15], v7, s[6:7] offset:32 scope:SCOPE_SYS
	global_load_b64 v[2:3], v7, s[6:7] offset:40
	s_mov_b32 s16, exec_lo
	v_dual_mov_b32 v12, s14 :: v_dual_mov_b32 v13, s15
	s_wait_loadcnt 0x0
	v_and_b32_e32 v2, s14, v2
	v_and_b32_e32 v3, s15, v3
	s_delay_alu instid0(VALU_DEP_2) | instskip(NEXT) | instid1(VALU_DEP_2)
	v_mul_lo_u32 v4, 0, v2
	v_mul_lo_u32 v3, 24, v3
	v_mul_hi_u32 v5, 24, v2
	v_mul_lo_u32 v2, 24, v2
	s_delay_alu instid0(VALU_DEP_3) | instskip(NEXT) | instid1(VALU_DEP_2)
	v_add_nc_u32_e32 v3, v3, v4
	v_add_co_u32 v10, vcc_lo, v22, v2
	s_delay_alu instid0(VALU_DEP_2) | instskip(SKIP_1) | instid1(VALU_DEP_1)
	v_add_nc_u32_e32 v3, v3, v5
	s_wait_alu 0xfffd
	v_add_co_ci_u32_e64 v11, null, v23, v3, vcc_lo
	global_store_b64 v[10:11], v[14:15], off
	global_wb scope:SCOPE_SYS
	s_wait_storecnt 0x0
	global_atomic_cmpswap_b64 v[4:5], v7, v[12:15], s[6:7] offset:32 th:TH_ATOMIC_RETURN scope:SCOPE_SYS
	s_wait_loadcnt 0x0
	v_cmpx_ne_u64_e64 v[4:5], v[14:15]
	s_cbranch_execz .LBB6_305
; %bb.303:                              ;   in Loop: Header=BB6_244 Depth=1
	s_mov_b32 s17, 0
.LBB6_304:                              ;   Parent Loop BB6_244 Depth=1
                                        ; =>  This Inner Loop Header: Depth=2
	v_dual_mov_b32 v2, s14 :: v_dual_mov_b32 v3, s15
	s_sleep 1
	global_store_b64 v[10:11], v[4:5], off
	global_wb scope:SCOPE_SYS
	s_wait_storecnt 0x0
	global_atomic_cmpswap_b64 v[2:3], v7, v[2:5], s[6:7] offset:32 th:TH_ATOMIC_RETURN scope:SCOPE_SYS
	s_wait_loadcnt 0x0
	v_cmp_eq_u64_e32 vcc_lo, v[2:3], v[4:5]
	v_dual_mov_b32 v5, v3 :: v_dual_mov_b32 v4, v2
	s_wait_alu 0xfffe
	s_or_b32 s17, vcc_lo, s17
	s_wait_alu 0xfffe
	s_and_not1_b32 exec_lo, exec_lo, s17
	s_cbranch_execnz .LBB6_304
.LBB6_305:                              ;   in Loop: Header=BB6_244 Depth=1
	s_wait_alu 0xfffe
	s_or_b32 exec_lo, exec_lo, s16
	global_load_b64 v[2:3], v7, s[6:7] offset:16
	s_mov_b32 s17, exec_lo
	s_mov_b32 s16, exec_lo
	s_wait_alu 0xfffe
	v_mbcnt_lo_u32_b32 v4, s17, 0
	s_delay_alu instid0(VALU_DEP_1)
	v_cmpx_eq_u32_e32 0, v4
	s_cbranch_execz .LBB6_307
; %bb.306:                              ;   in Loop: Header=BB6_244 Depth=1
	s_bcnt1_i32_b32 s17, s17
	s_wait_alu 0xfffe
	v_mov_b32_e32 v6, s17
	global_wb scope:SCOPE_SYS
	s_wait_loadcnt 0x0
	s_wait_storecnt 0x0
	global_atomic_add_u64 v[2:3], v[6:7], off offset:8 scope:SCOPE_SYS
.LBB6_307:                              ;   in Loop: Header=BB6_244 Depth=1
	s_or_b32 exec_lo, exec_lo, s16
	s_wait_loadcnt 0x0
	global_load_b64 v[4:5], v[2:3], off offset:16
	s_wait_loadcnt 0x0
	v_cmp_eq_u64_e32 vcc_lo, 0, v[4:5]
	s_cbranch_vccnz .LBB6_309
; %bb.308:                              ;   in Loop: Header=BB6_244 Depth=1
	global_load_b32 v6, v[2:3], off offset:24
	s_wait_loadcnt 0x0
	v_readfirstlane_b32 s16, v6
	global_wb scope:SCOPE_SYS
	s_wait_storecnt 0x0
	global_store_b64 v[4:5], v[6:7], off scope:SCOPE_SYS
	s_and_b32 m0, s16, 0xffffff
	s_sendmsg sendmsg(MSG_INTERRUPT)
.LBB6_309:                              ;   in Loop: Header=BB6_244 Depth=1
	s_wait_alu 0xfffe
	s_or_b32 exec_lo, exec_lo, s3
	v_add_co_u32 v2, vcc_lo, v24, v32
	s_wait_alu 0xfffd
	v_add_co_ci_u32_e64 v3, null, 0, v25, vcc_lo
	s_branch .LBB6_313
.LBB6_310:                              ;   in Loop: Header=BB6_313 Depth=2
	s_wait_alu 0xfffe
	s_or_b32 exec_lo, exec_lo, s3
	s_delay_alu instid0(VALU_DEP_1)
	v_readfirstlane_b32 s3, v4
	s_cmp_eq_u32 s3, 0
	s_cbranch_scc1 .LBB6_312
; %bb.311:                              ;   in Loop: Header=BB6_313 Depth=2
	s_sleep 1
	s_cbranch_execnz .LBB6_313
	s_branch .LBB6_315
.LBB6_312:                              ;   in Loop: Header=BB6_244 Depth=1
	s_branch .LBB6_315
.LBB6_313:                              ;   Parent Loop BB6_244 Depth=1
                                        ; =>  This Inner Loop Header: Depth=2
	v_mov_b32_e32 v4, 1
	s_and_saveexec_b32 s3, s2
	s_cbranch_execz .LBB6_310
; %bb.314:                              ;   in Loop: Header=BB6_313 Depth=2
	global_load_b32 v4, v[27:28], off offset:20 scope:SCOPE_SYS
	s_wait_loadcnt 0x0
	global_inv scope:SCOPE_SYS
	v_and_b32_e32 v4, 1, v4
	s_branch .LBB6_310
.LBB6_315:                              ;   in Loop: Header=BB6_244 Depth=1
	global_load_b64 v[2:3], v[2:3], off
	s_and_saveexec_b32 s16, s2
	s_cbranch_execz .LBB6_243
; %bb.316:                              ;   in Loop: Header=BB6_244 Depth=1
	s_clause 0x2
	global_load_b64 v[4:5], v7, s[6:7] offset:40
	global_load_b64 v[14:15], v7, s[6:7] offset:24 scope:SCOPE_SYS
	global_load_b64 v[10:11], v7, s[6:7]
	s_wait_loadcnt 0x2
	v_readfirstlane_b32 s18, v4
	v_readfirstlane_b32 s19, v5
	s_add_nc_u64 s[2:3], s[18:19], 1
	s_wait_alu 0xfffe
	s_add_nc_u64 s[14:15], s[2:3], s[14:15]
	s_wait_alu 0xfffe
	s_cmp_eq_u64 s[14:15], 0
	s_cselect_b32 s3, s3, s15
	s_cselect_b32 s2, s2, s14
	s_wait_alu 0xfffe
	v_dual_mov_b32 v13, s3 :: v_dual_mov_b32 v12, s2
	s_and_b64 s[14:15], s[2:3], s[18:19]
	s_wait_alu 0xfffe
	s_mul_u64 s[14:15], s[14:15], 24
	s_wait_loadcnt 0x0
	s_wait_alu 0xfffe
	v_add_co_u32 v4, vcc_lo, v10, s14
	s_wait_alu 0xfffd
	v_add_co_ci_u32_e64 v5, null, s15, v11, vcc_lo
	global_store_b64 v[4:5], v[14:15], off
	global_wb scope:SCOPE_SYS
	s_wait_storecnt 0x0
	global_atomic_cmpswap_b64 v[12:13], v7, v[12:15], s[6:7] offset:24 th:TH_ATOMIC_RETURN scope:SCOPE_SYS
	s_wait_loadcnt 0x0
	v_cmp_ne_u64_e32 vcc_lo, v[12:13], v[14:15]
	s_and_b32 exec_lo, exec_lo, vcc_lo
	s_cbranch_execz .LBB6_243
; %bb.317:                              ;   in Loop: Header=BB6_244 Depth=1
	s_mov_b32 s14, 0
.LBB6_318:                              ;   Parent Loop BB6_244 Depth=1
                                        ; =>  This Inner Loop Header: Depth=2
	v_dual_mov_b32 v10, s2 :: v_dual_mov_b32 v11, s3
	s_sleep 1
	global_store_b64 v[4:5], v[12:13], off
	global_wb scope:SCOPE_SYS
	s_wait_storecnt 0x0
	global_atomic_cmpswap_b64 v[10:11], v7, v[10:13], s[6:7] offset:24 th:TH_ATOMIC_RETURN scope:SCOPE_SYS
	s_wait_loadcnt 0x0
	v_cmp_eq_u64_e32 vcc_lo, v[10:11], v[12:13]
	v_dual_mov_b32 v13, v11 :: v_dual_mov_b32 v12, v10
	s_wait_alu 0xfffe
	s_or_b32 s14, vcc_lo, s14
	s_wait_alu 0xfffe
	s_and_not1_b32 exec_lo, exec_lo, s14
	s_cbranch_execnz .LBB6_318
	s_branch .LBB6_243
.LBB6_319:
	s_branch .LBB6_348
.LBB6_320:
                                        ; implicit-def: $vgpr2_vgpr3
	s_cbranch_execz .LBB6_348
; %bb.321:
	v_readfirstlane_b32 s2, v33
	v_mov_b32_e32 v8, 0
	v_mov_b32_e32 v9, 0
	s_wait_alu 0xf1ff
	s_delay_alu instid0(VALU_DEP_3)
	v_cmp_eq_u32_e64 s2, s2, v33
	s_and_saveexec_b32 s3, s2
	s_cbranch_execz .LBB6_327
; %bb.322:
	s_wait_loadcnt 0x0
	v_mov_b32_e32 v2, 0
	s_mov_b32 s8, exec_lo
	global_load_b64 v[5:6], v2, s[6:7] offset:24 scope:SCOPE_SYS
	s_wait_loadcnt 0x0
	global_inv scope:SCOPE_SYS
	s_clause 0x1
	global_load_b64 v[3:4], v2, s[6:7] offset:40
	global_load_b64 v[7:8], v2, s[6:7]
	s_wait_loadcnt 0x1
	v_and_b32_e32 v4, v4, v6
	v_and_b32_e32 v3, v3, v5
	s_delay_alu instid0(VALU_DEP_2) | instskip(NEXT) | instid1(VALU_DEP_2)
	v_mul_lo_u32 v4, 24, v4
	v_mul_lo_u32 v9, 0, v3
	v_mul_hi_u32 v10, 24, v3
	v_mul_lo_u32 v3, 24, v3
	s_delay_alu instid0(VALU_DEP_3) | instskip(SKIP_1) | instid1(VALU_DEP_2)
	v_add_nc_u32_e32 v4, v4, v9
	s_wait_loadcnt 0x0
	v_add_co_u32 v3, vcc_lo, v7, v3
	s_delay_alu instid0(VALU_DEP_2) | instskip(SKIP_1) | instid1(VALU_DEP_1)
	v_add_nc_u32_e32 v4, v4, v10
	s_wait_alu 0xfffd
	v_add_co_ci_u32_e64 v4, null, v8, v4, vcc_lo
	global_load_b64 v[3:4], v[3:4], off scope:SCOPE_SYS
	s_wait_loadcnt 0x0
	global_atomic_cmpswap_b64 v[8:9], v2, v[3:6], s[6:7] offset:24 th:TH_ATOMIC_RETURN scope:SCOPE_SYS
	s_wait_loadcnt 0x0
	global_inv scope:SCOPE_SYS
	v_cmpx_ne_u64_e64 v[8:9], v[5:6]
	s_cbranch_execz .LBB6_326
; %bb.323:
	s_mov_b32 s9, 0
.LBB6_324:                              ; =>This Inner Loop Header: Depth=1
	s_sleep 1
	s_clause 0x1
	global_load_b64 v[3:4], v2, s[6:7] offset:40
	global_load_b64 v[10:11], v2, s[6:7]
	v_dual_mov_b32 v5, v8 :: v_dual_mov_b32 v6, v9
	s_wait_loadcnt 0x1
	s_delay_alu instid0(VALU_DEP_1) | instskip(NEXT) | instid1(VALU_DEP_2)
	v_and_b32_e32 v3, v3, v5
	v_and_b32_e32 v4, v4, v6
	s_wait_loadcnt 0x0
	s_delay_alu instid0(VALU_DEP_2) | instskip(NEXT) | instid1(VALU_DEP_1)
	v_mad_co_u64_u32 v[7:8], null, v3, 24, v[10:11]
	v_mov_b32_e32 v3, v8
	s_delay_alu instid0(VALU_DEP_1) | instskip(NEXT) | instid1(VALU_DEP_1)
	v_mad_co_u64_u32 v[3:4], null, v4, 24, v[3:4]
	v_mov_b32_e32 v8, v3
	global_load_b64 v[3:4], v[7:8], off scope:SCOPE_SYS
	s_wait_loadcnt 0x0
	global_atomic_cmpswap_b64 v[8:9], v2, v[3:6], s[6:7] offset:24 th:TH_ATOMIC_RETURN scope:SCOPE_SYS
	s_wait_loadcnt 0x0
	global_inv scope:SCOPE_SYS
	v_cmp_eq_u64_e32 vcc_lo, v[8:9], v[5:6]
	s_wait_alu 0xfffe
	s_or_b32 s9, vcc_lo, s9
	s_wait_alu 0xfffe
	s_and_not1_b32 exec_lo, exec_lo, s9
	s_cbranch_execnz .LBB6_324
; %bb.325:
	s_or_b32 exec_lo, exec_lo, s9
.LBB6_326:
	s_wait_alu 0xfffe
	s_or_b32 exec_lo, exec_lo, s8
.LBB6_327:
	s_wait_alu 0xfffe
	s_or_b32 exec_lo, exec_lo, s3
	v_readfirstlane_b32 s9, v9
	s_wait_loadcnt 0x0
	v_mov_b32_e32 v2, 0
	v_readfirstlane_b32 s8, v8
	s_mov_b32 s3, exec_lo
	s_clause 0x1
	global_load_b64 v[10:11], v2, s[6:7] offset:40
	global_load_b128 v[4:7], v2, s[6:7]
	s_wait_loadcnt 0x1
	s_wait_alu 0xf1ff
	v_and_b32_e32 v11, s9, v11
	v_and_b32_e32 v10, s8, v10
	s_delay_alu instid0(VALU_DEP_2) | instskip(NEXT) | instid1(VALU_DEP_2)
	v_mul_lo_u32 v3, 24, v11
	v_mul_lo_u32 v8, 0, v10
	v_mul_hi_u32 v9, 24, v10
	v_mul_lo_u32 v12, 24, v10
	s_delay_alu instid0(VALU_DEP_3) | instskip(SKIP_1) | instid1(VALU_DEP_2)
	v_add_nc_u32_e32 v3, v3, v8
	s_wait_loadcnt 0x0
	v_add_co_u32 v8, vcc_lo, v4, v12
	s_delay_alu instid0(VALU_DEP_2) | instskip(SKIP_1) | instid1(VALU_DEP_1)
	v_add_nc_u32_e32 v3, v3, v9
	s_wait_alu 0xfffd
	v_add_co_ci_u32_e64 v9, null, v5, v3, vcc_lo
	s_and_saveexec_b32 s10, s2
	s_cbranch_execz .LBB6_329
; %bb.328:
	s_wait_alu 0xfffe
	v_dual_mov_b32 v12, s3 :: v_dual_mov_b32 v13, v2
	v_dual_mov_b32 v14, 2 :: v_dual_mov_b32 v15, 1
	global_store_b128 v[8:9], v[12:15], off offset:8
.LBB6_329:
	s_wait_alu 0xfffe
	s_or_b32 exec_lo, exec_lo, s10
	v_lshlrev_b64_e32 v[10:11], 12, v[10:11]
	s_mov_b32 s12, 0
	v_and_or_b32 v0, 0xffffff1f, v0, 32
	s_wait_alu 0xfffe
	s_mov_b32 s13, s12
	s_mov_b32 s14, s12
	;; [unrolled: 1-line block ×3, first 2 shown]
	v_add_co_u32 v6, vcc_lo, v6, v10
	s_wait_alu 0xfffd
	v_add_co_ci_u32_e64 v7, null, v7, v11, vcc_lo
	v_dual_mov_b32 v3, v2 :: v_dual_mov_b32 v10, s12
	s_delay_alu instid0(VALU_DEP_3) | instskip(SKIP_1) | instid1(VALU_DEP_4)
	v_readfirstlane_b32 s10, v6
	v_add_co_u32 v6, vcc_lo, v6, v32
	v_readfirstlane_b32 s11, v7
	s_wait_alu 0xfffd
	v_add_co_ci_u32_e64 v7, null, 0, v7, vcc_lo
	s_wait_alu 0xfffe
	v_dual_mov_b32 v11, s13 :: v_dual_mov_b32 v12, s14
	v_mov_b32_e32 v13, s15
	s_clause 0x3
	global_store_b128 v32, v[0:3], s[10:11]
	global_store_b128 v32, v[10:13], s[10:11] offset:16
	global_store_b128 v32, v[10:13], s[10:11] offset:32
	;; [unrolled: 1-line block ×3, first 2 shown]
	s_and_saveexec_b32 s3, s2
	s_cbranch_execz .LBB6_337
; %bb.330:
	v_mov_b32_e32 v10, 0
	s_mov_b32 s10, exec_lo
	s_clause 0x1
	global_load_b64 v[13:14], v10, s[6:7] offset:32 scope:SCOPE_SYS
	global_load_b64 v[0:1], v10, s[6:7] offset:40
	v_dual_mov_b32 v11, s8 :: v_dual_mov_b32 v12, s9
	s_wait_loadcnt 0x0
	v_and_b32_e32 v1, s9, v1
	v_and_b32_e32 v0, s8, v0
	s_delay_alu instid0(VALU_DEP_2) | instskip(NEXT) | instid1(VALU_DEP_2)
	v_mul_lo_u32 v1, 24, v1
	v_mul_lo_u32 v2, 0, v0
	v_mul_hi_u32 v3, 24, v0
	v_mul_lo_u32 v0, 24, v0
	s_delay_alu instid0(VALU_DEP_3) | instskip(NEXT) | instid1(VALU_DEP_2)
	v_add_nc_u32_e32 v1, v1, v2
	v_add_co_u32 v4, vcc_lo, v4, v0
	s_delay_alu instid0(VALU_DEP_2) | instskip(SKIP_1) | instid1(VALU_DEP_1)
	v_add_nc_u32_e32 v1, v1, v3
	s_wait_alu 0xfffd
	v_add_co_ci_u32_e64 v5, null, v5, v1, vcc_lo
	global_store_b64 v[4:5], v[13:14], off
	global_wb scope:SCOPE_SYS
	s_wait_storecnt 0x0
	global_atomic_cmpswap_b64 v[2:3], v10, v[11:14], s[6:7] offset:32 th:TH_ATOMIC_RETURN scope:SCOPE_SYS
	s_wait_loadcnt 0x0
	v_cmpx_ne_u64_e64 v[2:3], v[13:14]
	s_cbranch_execz .LBB6_333
; %bb.331:
	s_mov_b32 s11, 0
.LBB6_332:                              ; =>This Inner Loop Header: Depth=1
	v_dual_mov_b32 v0, s8 :: v_dual_mov_b32 v1, s9
	s_sleep 1
	global_store_b64 v[4:5], v[2:3], off
	global_wb scope:SCOPE_SYS
	s_wait_storecnt 0x0
	global_atomic_cmpswap_b64 v[0:1], v10, v[0:3], s[6:7] offset:32 th:TH_ATOMIC_RETURN scope:SCOPE_SYS
	s_wait_loadcnt 0x0
	v_cmp_eq_u64_e32 vcc_lo, v[0:1], v[2:3]
	v_dual_mov_b32 v3, v1 :: v_dual_mov_b32 v2, v0
	s_wait_alu 0xfffe
	s_or_b32 s11, vcc_lo, s11
	s_wait_alu 0xfffe
	s_and_not1_b32 exec_lo, exec_lo, s11
	s_cbranch_execnz .LBB6_332
.LBB6_333:
	s_wait_alu 0xfffe
	s_or_b32 exec_lo, exec_lo, s10
	v_mov_b32_e32 v3, 0
	s_mov_b32 s11, exec_lo
	s_mov_b32 s10, exec_lo
	s_wait_alu 0xfffe
	v_mbcnt_lo_u32_b32 v2, s11, 0
	global_load_b64 v[0:1], v3, s[6:7] offset:16
	v_cmpx_eq_u32_e32 0, v2
	s_cbranch_execz .LBB6_335
; %bb.334:
	s_bcnt1_i32_b32 s11, s11
	s_wait_alu 0xfffe
	v_mov_b32_e32 v2, s11
	global_wb scope:SCOPE_SYS
	s_wait_loadcnt 0x0
	s_wait_storecnt 0x0
	global_atomic_add_u64 v[0:1], v[2:3], off offset:8 scope:SCOPE_SYS
.LBB6_335:
	s_or_b32 exec_lo, exec_lo, s10
	s_wait_loadcnt 0x0
	global_load_b64 v[2:3], v[0:1], off offset:16
	s_wait_loadcnt 0x0
	v_cmp_eq_u64_e32 vcc_lo, 0, v[2:3]
	s_cbranch_vccnz .LBB6_337
; %bb.336:
	global_load_b32 v0, v[0:1], off offset:24
	v_mov_b32_e32 v1, 0
	s_wait_loadcnt 0x0
	v_readfirstlane_b32 s10, v0
	global_wb scope:SCOPE_SYS
	s_wait_storecnt 0x0
	global_store_b64 v[2:3], v[0:1], off scope:SCOPE_SYS
	s_and_b32 m0, s10, 0xffffff
	s_sendmsg sendmsg(MSG_INTERRUPT)
.LBB6_337:
	s_wait_alu 0xfffe
	s_or_b32 exec_lo, exec_lo, s3
	s_branch .LBB6_341
.LBB6_338:                              ;   in Loop: Header=BB6_341 Depth=1
	s_wait_alu 0xfffe
	s_or_b32 exec_lo, exec_lo, s3
	s_delay_alu instid0(VALU_DEP_1)
	v_readfirstlane_b32 s3, v0
	s_cmp_eq_u32 s3, 0
	s_cbranch_scc1 .LBB6_340
; %bb.339:                              ;   in Loop: Header=BB6_341 Depth=1
	s_sleep 1
	s_cbranch_execnz .LBB6_341
	s_branch .LBB6_343
.LBB6_340:
	s_branch .LBB6_343
.LBB6_341:                              ; =>This Inner Loop Header: Depth=1
	v_mov_b32_e32 v0, 1
	s_and_saveexec_b32 s3, s2
	s_cbranch_execz .LBB6_338
; %bb.342:                              ;   in Loop: Header=BB6_341 Depth=1
	global_load_b32 v0, v[8:9], off offset:20 scope:SCOPE_SYS
	s_wait_loadcnt 0x0
	global_inv scope:SCOPE_SYS
	v_and_b32_e32 v0, 1, v0
	s_branch .LBB6_338
.LBB6_343:
	global_load_b64 v[2:3], v[6:7], off
	s_and_saveexec_b32 s10, s2
	s_cbranch_execz .LBB6_347
; %bb.344:
	v_mov_b32_e32 v8, 0
	s_clause 0x2
	global_load_b64 v[0:1], v8, s[6:7] offset:40
	global_load_b64 v[11:12], v8, s[6:7] offset:24 scope:SCOPE_SYS
	global_load_b64 v[4:5], v8, s[6:7]
	s_wait_loadcnt 0x2
	v_readfirstlane_b32 s12, v0
	v_readfirstlane_b32 s13, v1
	s_add_nc_u64 s[2:3], s[12:13], 1
	s_wait_alu 0xfffe
	s_add_nc_u64 s[8:9], s[2:3], s[8:9]
	s_wait_alu 0xfffe
	s_cmp_eq_u64 s[8:9], 0
	s_cselect_b32 s3, s3, s9
	s_cselect_b32 s2, s2, s8
	s_wait_alu 0xfffe
	v_mov_b32_e32 v10, s3
	s_and_b64 s[8:9], s[2:3], s[12:13]
	v_mov_b32_e32 v9, s2
	s_wait_alu 0xfffe
	s_mul_u64 s[8:9], s[8:9], 24
	s_wait_loadcnt 0x0
	s_wait_alu 0xfffe
	v_add_co_u32 v0, vcc_lo, v4, s8
	s_wait_alu 0xfffd
	v_add_co_ci_u32_e64 v1, null, s9, v5, vcc_lo
	global_store_b64 v[0:1], v[11:12], off
	global_wb scope:SCOPE_SYS
	s_wait_storecnt 0x0
	global_atomic_cmpswap_b64 v[6:7], v8, v[9:12], s[6:7] offset:24 th:TH_ATOMIC_RETURN scope:SCOPE_SYS
	s_wait_loadcnt 0x0
	v_cmp_ne_u64_e32 vcc_lo, v[6:7], v[11:12]
	s_and_b32 exec_lo, exec_lo, vcc_lo
	s_cbranch_execz .LBB6_347
; %bb.345:
	s_mov_b32 s8, 0
.LBB6_346:                              ; =>This Inner Loop Header: Depth=1
	v_dual_mov_b32 v4, s2 :: v_dual_mov_b32 v5, s3
	s_sleep 1
	global_store_b64 v[0:1], v[6:7], off
	global_wb scope:SCOPE_SYS
	s_wait_storecnt 0x0
	global_atomic_cmpswap_b64 v[4:5], v8, v[4:7], s[6:7] offset:24 th:TH_ATOMIC_RETURN scope:SCOPE_SYS
	s_wait_loadcnt 0x0
	v_cmp_eq_u64_e32 vcc_lo, v[4:5], v[6:7]
	v_dual_mov_b32 v7, v5 :: v_dual_mov_b32 v6, v4
	s_wait_alu 0xfffe
	s_or_b32 s8, vcc_lo, s8
	s_wait_alu 0xfffe
	s_and_not1_b32 exec_lo, exec_lo, s8
	s_cbranch_execnz .LBB6_346
.LBB6_347:
	s_wait_alu 0xfffe
	s_or_b32 exec_lo, exec_lo, s10
.LBB6_348:
	v_readfirstlane_b32 s2, v33
	s_wait_loadcnt 0x0
	v_mov_b32_e32 v0, 0
	v_mov_b32_e32 v1, 0
	s_wait_alu 0xf1ff
	v_cmp_eq_u32_e64 s2, s2, v33
	s_and_saveexec_b32 s3, s2
	s_cbranch_execz .LBB6_354
; %bb.349:
	v_mov_b32_e32 v4, 0
	s_mov_b32 s8, exec_lo
	global_load_b64 v[7:8], v4, s[6:7] offset:24 scope:SCOPE_SYS
	s_wait_loadcnt 0x0
	global_inv scope:SCOPE_SYS
	s_clause 0x1
	global_load_b64 v[0:1], v4, s[6:7] offset:40
	global_load_b64 v[5:6], v4, s[6:7]
	s_wait_loadcnt 0x1
	v_and_b32_e32 v1, v1, v8
	v_and_b32_e32 v0, v0, v7
	s_delay_alu instid0(VALU_DEP_2) | instskip(NEXT) | instid1(VALU_DEP_2)
	v_mul_lo_u32 v1, 24, v1
	v_mul_lo_u32 v9, 0, v0
	v_mul_hi_u32 v10, 24, v0
	v_mul_lo_u32 v0, 24, v0
	s_delay_alu instid0(VALU_DEP_3) | instskip(SKIP_1) | instid1(VALU_DEP_2)
	v_add_nc_u32_e32 v1, v1, v9
	s_wait_loadcnt 0x0
	v_add_co_u32 v0, vcc_lo, v5, v0
	s_delay_alu instid0(VALU_DEP_2) | instskip(SKIP_1) | instid1(VALU_DEP_1)
	v_add_nc_u32_e32 v1, v1, v10
	s_wait_alu 0xfffd
	v_add_co_ci_u32_e64 v1, null, v6, v1, vcc_lo
	global_load_b64 v[5:6], v[0:1], off scope:SCOPE_SYS
	s_wait_loadcnt 0x0
	global_atomic_cmpswap_b64 v[0:1], v4, v[5:8], s[6:7] offset:24 th:TH_ATOMIC_RETURN scope:SCOPE_SYS
	s_wait_loadcnt 0x0
	global_inv scope:SCOPE_SYS
	v_cmpx_ne_u64_e64 v[0:1], v[7:8]
	s_cbranch_execz .LBB6_353
; %bb.350:
	s_mov_b32 s9, 0
.LBB6_351:                              ; =>This Inner Loop Header: Depth=1
	s_sleep 1
	s_clause 0x1
	global_load_b64 v[5:6], v4, s[6:7] offset:40
	global_load_b64 v[9:10], v4, s[6:7]
	v_dual_mov_b32 v8, v1 :: v_dual_mov_b32 v7, v0
	s_wait_loadcnt 0x1
	s_delay_alu instid0(VALU_DEP_1) | instskip(NEXT) | instid1(VALU_DEP_2)
	v_and_b32_e32 v0, v5, v7
	v_and_b32_e32 v5, v6, v8
	s_wait_loadcnt 0x0
	s_delay_alu instid0(VALU_DEP_2) | instskip(NEXT) | instid1(VALU_DEP_1)
	v_mad_co_u64_u32 v[0:1], null, v0, 24, v[9:10]
	v_mad_co_u64_u32 v[5:6], null, v5, 24, v[1:2]
	s_delay_alu instid0(VALU_DEP_1)
	v_mov_b32_e32 v1, v5
	global_load_b64 v[5:6], v[0:1], off scope:SCOPE_SYS
	s_wait_loadcnt 0x0
	global_atomic_cmpswap_b64 v[0:1], v4, v[5:8], s[6:7] offset:24 th:TH_ATOMIC_RETURN scope:SCOPE_SYS
	s_wait_loadcnt 0x0
	global_inv scope:SCOPE_SYS
	v_cmp_eq_u64_e32 vcc_lo, v[0:1], v[7:8]
	s_wait_alu 0xfffe
	s_or_b32 s9, vcc_lo, s9
	s_wait_alu 0xfffe
	s_and_not1_b32 exec_lo, exec_lo, s9
	s_cbranch_execnz .LBB6_351
; %bb.352:
	s_or_b32 exec_lo, exec_lo, s9
.LBB6_353:
	s_wait_alu 0xfffe
	s_or_b32 exec_lo, exec_lo, s8
.LBB6_354:
	s_wait_alu 0xfffe
	s_or_b32 exec_lo, exec_lo, s3
	v_readfirstlane_b32 s8, v0
	v_mov_b32_e32 v5, 0
	v_readfirstlane_b32 s9, v1
	s_mov_b32 s3, exec_lo
	s_clause 0x1
	global_load_b64 v[10:11], v5, s[6:7] offset:40
	global_load_b128 v[6:9], v5, s[6:7]
	s_wait_loadcnt 0x1
	s_wait_alu 0xf1ff
	v_and_b32_e32 v1, s9, v11
	v_and_b32_e32 v0, s8, v10
	s_delay_alu instid0(VALU_DEP_2) | instskip(NEXT) | instid1(VALU_DEP_2)
	v_mul_lo_u32 v4, 24, v1
	v_mul_lo_u32 v10, 0, v0
	v_mul_hi_u32 v11, 24, v0
	v_mul_lo_u32 v12, 24, v0
	s_delay_alu instid0(VALU_DEP_3) | instskip(SKIP_1) | instid1(VALU_DEP_2)
	v_add_nc_u32_e32 v4, v4, v10
	s_wait_loadcnt 0x0
	v_add_co_u32 v10, vcc_lo, v6, v12
	s_delay_alu instid0(VALU_DEP_2) | instskip(SKIP_1) | instid1(VALU_DEP_1)
	v_add_nc_u32_e32 v4, v4, v11
	s_wait_alu 0xfffd
	v_add_co_ci_u32_e64 v11, null, v7, v4, vcc_lo
	s_and_saveexec_b32 s10, s2
	s_cbranch_execz .LBB6_356
; %bb.355:
	s_wait_alu 0xfffe
	v_dual_mov_b32 v4, s3 :: v_dual_mov_b32 v15, 1
	v_dual_mov_b32 v14, 2 :: v_dual_mov_b32 v13, v5
	s_delay_alu instid0(VALU_DEP_2)
	v_mov_b32_e32 v12, v4
	global_store_b128 v[10:11], v[12:15], off offset:8
.LBB6_356:
	s_wait_alu 0xfffe
	s_or_b32 exec_lo, exec_lo, s10
	v_lshlrev_b64_e32 v[0:1], 12, v[0:1]
	s_mov_b32 s12, 0
	s_lshr_b32 s3, s20, 5
	s_wait_alu 0xfffe
	s_mov_b32 s13, s12
	s_mov_b32 s14, s12
	;; [unrolled: 1-line block ×3, first 2 shown]
	v_add_co_u32 v0, vcc_lo, v8, v0
	s_wait_alu 0xfffd
	v_add_co_ci_u32_e64 v1, null, v9, v1, vcc_lo
	v_and_or_b32 v2, 0xffffff1f, v2, 32
	s_delay_alu instid0(VALU_DEP_3)
	v_add_co_u32 v8, vcc_lo, v0, v32
	v_mov_b32_e32 v4, s3
	v_readfirstlane_b32 s10, v0
	v_readfirstlane_b32 s11, v1
	s_wait_alu 0xfffe
	v_dual_mov_b32 v12, s12 :: v_dual_mov_b32 v15, s15
	s_wait_alu 0xfffd
	v_add_co_ci_u32_e64 v9, null, 0, v1, vcc_lo
	v_dual_mov_b32 v13, s13 :: v_dual_mov_b32 v14, s14
	s_clause 0x3
	global_store_b128 v32, v[2:5], s[10:11]
	global_store_b128 v32, v[12:15], s[10:11] offset:16
	global_store_b128 v32, v[12:15], s[10:11] offset:32
	;; [unrolled: 1-line block ×3, first 2 shown]
	s_and_saveexec_b32 s3, s2
	s_cbranch_execz .LBB6_364
; %bb.357:
	v_mov_b32_e32 v12, 0
	s_mov_b32 s10, exec_lo
	s_clause 0x1
	global_load_b64 v[15:16], v12, s[6:7] offset:32 scope:SCOPE_SYS
	global_load_b64 v[0:1], v12, s[6:7] offset:40
	v_dual_mov_b32 v13, s8 :: v_dual_mov_b32 v14, s9
	s_wait_loadcnt 0x0
	v_and_b32_e32 v1, s9, v1
	v_and_b32_e32 v0, s8, v0
	s_delay_alu instid0(VALU_DEP_2) | instskip(NEXT) | instid1(VALU_DEP_2)
	v_mul_lo_u32 v1, 24, v1
	v_mul_lo_u32 v2, 0, v0
	v_mul_hi_u32 v3, 24, v0
	v_mul_lo_u32 v0, 24, v0
	s_delay_alu instid0(VALU_DEP_3) | instskip(NEXT) | instid1(VALU_DEP_2)
	v_add_nc_u32_e32 v1, v1, v2
	v_add_co_u32 v4, vcc_lo, v6, v0
	s_delay_alu instid0(VALU_DEP_2) | instskip(SKIP_1) | instid1(VALU_DEP_1)
	v_add_nc_u32_e32 v1, v1, v3
	s_wait_alu 0xfffd
	v_add_co_ci_u32_e64 v5, null, v7, v1, vcc_lo
	global_store_b64 v[4:5], v[15:16], off
	global_wb scope:SCOPE_SYS
	s_wait_storecnt 0x0
	global_atomic_cmpswap_b64 v[2:3], v12, v[13:16], s[6:7] offset:32 th:TH_ATOMIC_RETURN scope:SCOPE_SYS
	s_wait_loadcnt 0x0
	v_cmpx_ne_u64_e64 v[2:3], v[15:16]
	s_cbranch_execz .LBB6_360
; %bb.358:
	s_mov_b32 s11, 0
.LBB6_359:                              ; =>This Inner Loop Header: Depth=1
	v_dual_mov_b32 v0, s8 :: v_dual_mov_b32 v1, s9
	s_sleep 1
	global_store_b64 v[4:5], v[2:3], off
	global_wb scope:SCOPE_SYS
	s_wait_storecnt 0x0
	global_atomic_cmpswap_b64 v[0:1], v12, v[0:3], s[6:7] offset:32 th:TH_ATOMIC_RETURN scope:SCOPE_SYS
	s_wait_loadcnt 0x0
	v_cmp_eq_u64_e32 vcc_lo, v[0:1], v[2:3]
	v_dual_mov_b32 v3, v1 :: v_dual_mov_b32 v2, v0
	s_wait_alu 0xfffe
	s_or_b32 s11, vcc_lo, s11
	s_wait_alu 0xfffe
	s_and_not1_b32 exec_lo, exec_lo, s11
	s_cbranch_execnz .LBB6_359
.LBB6_360:
	s_wait_alu 0xfffe
	s_or_b32 exec_lo, exec_lo, s10
	v_mov_b32_e32 v3, 0
	s_mov_b32 s11, exec_lo
	s_mov_b32 s10, exec_lo
	s_wait_alu 0xfffe
	v_mbcnt_lo_u32_b32 v2, s11, 0
	global_load_b64 v[0:1], v3, s[6:7] offset:16
	v_cmpx_eq_u32_e32 0, v2
	s_cbranch_execz .LBB6_362
; %bb.361:
	s_bcnt1_i32_b32 s11, s11
	s_wait_alu 0xfffe
	v_mov_b32_e32 v2, s11
	global_wb scope:SCOPE_SYS
	s_wait_loadcnt 0x0
	s_wait_storecnt 0x0
	global_atomic_add_u64 v[0:1], v[2:3], off offset:8 scope:SCOPE_SYS
.LBB6_362:
	s_or_b32 exec_lo, exec_lo, s10
	s_wait_loadcnt 0x0
	global_load_b64 v[2:3], v[0:1], off offset:16
	s_wait_loadcnt 0x0
	v_cmp_eq_u64_e32 vcc_lo, 0, v[2:3]
	s_cbranch_vccnz .LBB6_364
; %bb.363:
	global_load_b32 v0, v[0:1], off offset:24
	v_mov_b32_e32 v1, 0
	s_wait_loadcnt 0x0
	v_readfirstlane_b32 s10, v0
	global_wb scope:SCOPE_SYS
	s_wait_storecnt 0x0
	global_store_b64 v[2:3], v[0:1], off scope:SCOPE_SYS
	s_and_b32 m0, s10, 0xffffff
	s_sendmsg sendmsg(MSG_INTERRUPT)
.LBB6_364:
	s_wait_alu 0xfffe
	s_or_b32 exec_lo, exec_lo, s3
	s_branch .LBB6_368
.LBB6_365:                              ;   in Loop: Header=BB6_368 Depth=1
	s_wait_alu 0xfffe
	s_or_b32 exec_lo, exec_lo, s3
	s_delay_alu instid0(VALU_DEP_1)
	v_readfirstlane_b32 s3, v0
	s_cmp_eq_u32 s3, 0
	s_cbranch_scc1 .LBB6_367
; %bb.366:                              ;   in Loop: Header=BB6_368 Depth=1
	s_sleep 1
	s_cbranch_execnz .LBB6_368
	s_branch .LBB6_370
.LBB6_367:
	s_branch .LBB6_370
.LBB6_368:                              ; =>This Inner Loop Header: Depth=1
	v_mov_b32_e32 v0, 1
	s_and_saveexec_b32 s3, s2
	s_cbranch_execz .LBB6_365
; %bb.369:                              ;   in Loop: Header=BB6_368 Depth=1
	global_load_b32 v0, v[10:11], off offset:20 scope:SCOPE_SYS
	s_wait_loadcnt 0x0
	global_inv scope:SCOPE_SYS
	v_and_b32_e32 v0, 1, v0
	s_branch .LBB6_365
.LBB6_370:
	global_load_b64 v[0:1], v[8:9], off
	s_and_saveexec_b32 s10, s2
	s_cbranch_execz .LBB6_374
; %bb.371:
	v_mov_b32_e32 v8, 0
	s_clause 0x2
	global_load_b64 v[2:3], v8, s[6:7] offset:40
	global_load_b64 v[11:12], v8, s[6:7] offset:24 scope:SCOPE_SYS
	global_load_b64 v[4:5], v8, s[6:7]
	s_wait_loadcnt 0x2
	v_readfirstlane_b32 s12, v2
	v_readfirstlane_b32 s13, v3
	s_add_nc_u64 s[2:3], s[12:13], 1
	s_wait_alu 0xfffe
	s_add_nc_u64 s[8:9], s[2:3], s[8:9]
	s_wait_alu 0xfffe
	s_cmp_eq_u64 s[8:9], 0
	s_cselect_b32 s3, s3, s9
	s_cselect_b32 s2, s2, s8
	s_wait_alu 0xfffe
	v_mov_b32_e32 v10, s3
	s_and_b64 s[8:9], s[2:3], s[12:13]
	v_mov_b32_e32 v9, s2
	s_wait_alu 0xfffe
	s_mul_u64 s[8:9], s[8:9], 24
	s_wait_loadcnt 0x0
	s_wait_alu 0xfffe
	v_add_co_u32 v6, vcc_lo, v4, s8
	s_wait_alu 0xfffd
	v_add_co_ci_u32_e64 v7, null, s9, v5, vcc_lo
	global_store_b64 v[6:7], v[11:12], off
	global_wb scope:SCOPE_SYS
	s_wait_storecnt 0x0
	global_atomic_cmpswap_b64 v[4:5], v8, v[9:12], s[6:7] offset:24 th:TH_ATOMIC_RETURN scope:SCOPE_SYS
	s_wait_loadcnt 0x0
	v_cmp_ne_u64_e32 vcc_lo, v[4:5], v[11:12]
	s_and_b32 exec_lo, exec_lo, vcc_lo
	s_cbranch_execz .LBB6_374
; %bb.372:
	s_mov_b32 s8, 0
.LBB6_373:                              ; =>This Inner Loop Header: Depth=1
	v_dual_mov_b32 v2, s2 :: v_dual_mov_b32 v3, s3
	s_sleep 1
	global_store_b64 v[6:7], v[4:5], off
	global_wb scope:SCOPE_SYS
	s_wait_storecnt 0x0
	global_atomic_cmpswap_b64 v[2:3], v8, v[2:5], s[6:7] offset:24 th:TH_ATOMIC_RETURN scope:SCOPE_SYS
	s_wait_loadcnt 0x0
	v_cmp_eq_u64_e32 vcc_lo, v[2:3], v[4:5]
	v_dual_mov_b32 v5, v3 :: v_dual_mov_b32 v4, v2
	s_wait_alu 0xfffe
	s_or_b32 s8, vcc_lo, s8
	s_wait_alu 0xfffe
	s_and_not1_b32 exec_lo, exec_lo, s8
	s_cbranch_execnz .LBB6_373
.LBB6_374:
	s_wait_alu 0xfffe
	s_or_b32 exec_lo, exec_lo, s10
	v_readfirstlane_b32 s2, v33
	v_mov_b32_e32 v8, 0
	v_mov_b32_e32 v9, 0
	s_wait_alu 0xf1ff
	s_delay_alu instid0(VALU_DEP_3)
	v_cmp_eq_u32_e64 s2, s2, v33
	s_and_saveexec_b32 s3, s2
	s_cbranch_execz .LBB6_380
; %bb.375:
	v_mov_b32_e32 v2, 0
	s_mov_b32 s8, exec_lo
	global_load_b64 v[5:6], v2, s[6:7] offset:24 scope:SCOPE_SYS
	s_wait_loadcnt 0x0
	global_inv scope:SCOPE_SYS
	s_clause 0x1
	global_load_b64 v[3:4], v2, s[6:7] offset:40
	global_load_b64 v[7:8], v2, s[6:7]
	s_wait_loadcnt 0x1
	v_and_b32_e32 v4, v4, v6
	v_and_b32_e32 v3, v3, v5
	s_delay_alu instid0(VALU_DEP_2) | instskip(NEXT) | instid1(VALU_DEP_2)
	v_mul_lo_u32 v4, 24, v4
	v_mul_lo_u32 v9, 0, v3
	v_mul_hi_u32 v10, 24, v3
	v_mul_lo_u32 v3, 24, v3
	s_delay_alu instid0(VALU_DEP_3) | instskip(SKIP_1) | instid1(VALU_DEP_2)
	v_add_nc_u32_e32 v4, v4, v9
	s_wait_loadcnt 0x0
	v_add_co_u32 v3, vcc_lo, v7, v3
	s_delay_alu instid0(VALU_DEP_2) | instskip(SKIP_1) | instid1(VALU_DEP_1)
	v_add_nc_u32_e32 v4, v4, v10
	s_wait_alu 0xfffd
	v_add_co_ci_u32_e64 v4, null, v8, v4, vcc_lo
	global_load_b64 v[3:4], v[3:4], off scope:SCOPE_SYS
	s_wait_loadcnt 0x0
	global_atomic_cmpswap_b64 v[8:9], v2, v[3:6], s[6:7] offset:24 th:TH_ATOMIC_RETURN scope:SCOPE_SYS
	s_wait_loadcnt 0x0
	global_inv scope:SCOPE_SYS
	v_cmpx_ne_u64_e64 v[8:9], v[5:6]
	s_cbranch_execz .LBB6_379
; %bb.376:
	s_mov_b32 s9, 0
.LBB6_377:                              ; =>This Inner Loop Header: Depth=1
	s_sleep 1
	s_clause 0x1
	global_load_b64 v[3:4], v2, s[6:7] offset:40
	global_load_b64 v[10:11], v2, s[6:7]
	v_dual_mov_b32 v5, v8 :: v_dual_mov_b32 v6, v9
	s_wait_loadcnt 0x1
	s_delay_alu instid0(VALU_DEP_1) | instskip(NEXT) | instid1(VALU_DEP_2)
	v_and_b32_e32 v3, v3, v5
	v_and_b32_e32 v4, v4, v6
	s_wait_loadcnt 0x0
	s_delay_alu instid0(VALU_DEP_2) | instskip(NEXT) | instid1(VALU_DEP_1)
	v_mad_co_u64_u32 v[7:8], null, v3, 24, v[10:11]
	v_mov_b32_e32 v3, v8
	s_delay_alu instid0(VALU_DEP_1) | instskip(NEXT) | instid1(VALU_DEP_1)
	v_mad_co_u64_u32 v[3:4], null, v4, 24, v[3:4]
	v_mov_b32_e32 v8, v3
	global_load_b64 v[3:4], v[7:8], off scope:SCOPE_SYS
	s_wait_loadcnt 0x0
	global_atomic_cmpswap_b64 v[8:9], v2, v[3:6], s[6:7] offset:24 th:TH_ATOMIC_RETURN scope:SCOPE_SYS
	s_wait_loadcnt 0x0
	global_inv scope:SCOPE_SYS
	v_cmp_eq_u64_e32 vcc_lo, v[8:9], v[5:6]
	s_wait_alu 0xfffe
	s_or_b32 s9, vcc_lo, s9
	s_wait_alu 0xfffe
	s_and_not1_b32 exec_lo, exec_lo, s9
	s_cbranch_execnz .LBB6_377
; %bb.378:
	s_or_b32 exec_lo, exec_lo, s9
.LBB6_379:
	s_wait_alu 0xfffe
	s_or_b32 exec_lo, exec_lo, s8
.LBB6_380:
	s_wait_alu 0xfffe
	s_or_b32 exec_lo, exec_lo, s3
	v_readfirstlane_b32 s8, v8
	v_mov_b32_e32 v3, 0
	v_readfirstlane_b32 s9, v9
	s_mov_b32 s3, exec_lo
	s_clause 0x1
	global_load_b64 v[10:11], v3, s[6:7] offset:40
	global_load_b128 v[4:7], v3, s[6:7]
	s_wait_loadcnt 0x1
	s_wait_alu 0xf1ff
	v_and_b32_e32 v11, s9, v11
	v_and_b32_e32 v10, s8, v10
	s_delay_alu instid0(VALU_DEP_2) | instskip(NEXT) | instid1(VALU_DEP_2)
	v_mul_lo_u32 v2, 24, v11
	v_mul_lo_u32 v8, 0, v10
	v_mul_hi_u32 v9, 24, v10
	v_mul_lo_u32 v12, 24, v10
	s_delay_alu instid0(VALU_DEP_3) | instskip(SKIP_1) | instid1(VALU_DEP_2)
	v_add_nc_u32_e32 v2, v2, v8
	s_wait_loadcnt 0x0
	v_add_co_u32 v8, vcc_lo, v4, v12
	s_delay_alu instid0(VALU_DEP_2) | instskip(SKIP_1) | instid1(VALU_DEP_1)
	v_add_nc_u32_e32 v2, v2, v9
	s_wait_alu 0xfffd
	v_add_co_ci_u32_e64 v9, null, v5, v2, vcc_lo
	s_and_saveexec_b32 s10, s2
	s_cbranch_execz .LBB6_382
; %bb.381:
	s_wait_alu 0xfffe
	v_dual_mov_b32 v2, s3 :: v_dual_mov_b32 v15, 1
	v_dual_mov_b32 v14, 2 :: v_dual_mov_b32 v13, v3
	s_delay_alu instid0(VALU_DEP_2)
	v_mov_b32_e32 v12, v2
	global_store_b128 v[8:9], v[12:15], off offset:8
.LBB6_382:
	s_wait_alu 0xfffe
	s_or_b32 exec_lo, exec_lo, s10
	v_lshlrev_b64_e32 v[10:11], 12, v[10:11]
	s_mov_b32 s12, 0
	v_and_or_b32 v0, 0xffffff1d, v0, 34
	s_wait_alu 0xfffe
	s_mov_b32 s13, s12
	s_mov_b32 s14, s12
	;; [unrolled: 1-line block ×3, first 2 shown]
	v_add_co_u32 v6, vcc_lo, v6, v10
	s_wait_alu 0xfffd
	v_add_co_ci_u32_e64 v7, null, v7, v11, vcc_lo
	v_mov_b32_e32 v2, 32
	s_delay_alu instid0(VALU_DEP_3)
	v_readfirstlane_b32 s10, v6
	s_wait_alu 0xfffe
	v_dual_mov_b32 v10, s12 :: v_dual_mov_b32 v13, s15
	v_readfirstlane_b32 s11, v7
	v_dual_mov_b32 v11, s13 :: v_dual_mov_b32 v12, s14
	s_clause 0x3
	global_store_b128 v32, v[0:3], s[10:11]
	global_store_b128 v32, v[10:13], s[10:11] offset:16
	global_store_b128 v32, v[10:13], s[10:11] offset:32
	;; [unrolled: 1-line block ×3, first 2 shown]
	s_and_saveexec_b32 s3, s2
	s_cbranch_execz .LBB6_390
; %bb.383:
	v_mov_b32_e32 v6, 0
	s_mov_b32 s10, exec_lo
	s_clause 0x1
	global_load_b64 v[12:13], v6, s[6:7] offset:32 scope:SCOPE_SYS
	global_load_b64 v[0:1], v6, s[6:7] offset:40
	v_dual_mov_b32 v11, s9 :: v_dual_mov_b32 v10, s8
	s_wait_loadcnt 0x0
	v_and_b32_e32 v1, s9, v1
	v_and_b32_e32 v0, s8, v0
	s_delay_alu instid0(VALU_DEP_2) | instskip(NEXT) | instid1(VALU_DEP_2)
	v_mul_lo_u32 v1, 24, v1
	v_mul_lo_u32 v2, 0, v0
	v_mul_hi_u32 v3, 24, v0
	v_mul_lo_u32 v0, 24, v0
	s_delay_alu instid0(VALU_DEP_3) | instskip(NEXT) | instid1(VALU_DEP_2)
	v_add_nc_u32_e32 v1, v1, v2
	v_add_co_u32 v4, vcc_lo, v4, v0
	s_delay_alu instid0(VALU_DEP_2) | instskip(SKIP_1) | instid1(VALU_DEP_1)
	v_add_nc_u32_e32 v1, v1, v3
	s_wait_alu 0xfffd
	v_add_co_ci_u32_e64 v5, null, v5, v1, vcc_lo
	global_store_b64 v[4:5], v[12:13], off
	global_wb scope:SCOPE_SYS
	s_wait_storecnt 0x0
	global_atomic_cmpswap_b64 v[2:3], v6, v[10:13], s[6:7] offset:32 th:TH_ATOMIC_RETURN scope:SCOPE_SYS
	s_wait_loadcnt 0x0
	v_cmpx_ne_u64_e64 v[2:3], v[12:13]
	s_cbranch_execz .LBB6_386
; %bb.384:
	s_mov_b32 s11, 0
.LBB6_385:                              ; =>This Inner Loop Header: Depth=1
	v_dual_mov_b32 v0, s8 :: v_dual_mov_b32 v1, s9
	s_sleep 1
	global_store_b64 v[4:5], v[2:3], off
	global_wb scope:SCOPE_SYS
	s_wait_storecnt 0x0
	global_atomic_cmpswap_b64 v[0:1], v6, v[0:3], s[6:7] offset:32 th:TH_ATOMIC_RETURN scope:SCOPE_SYS
	s_wait_loadcnt 0x0
	v_cmp_eq_u64_e32 vcc_lo, v[0:1], v[2:3]
	v_dual_mov_b32 v3, v1 :: v_dual_mov_b32 v2, v0
	s_wait_alu 0xfffe
	s_or_b32 s11, vcc_lo, s11
	s_wait_alu 0xfffe
	s_and_not1_b32 exec_lo, exec_lo, s11
	s_cbranch_execnz .LBB6_385
.LBB6_386:
	s_wait_alu 0xfffe
	s_or_b32 exec_lo, exec_lo, s10
	v_mov_b32_e32 v3, 0
	s_mov_b32 s11, exec_lo
	s_mov_b32 s10, exec_lo
	s_wait_alu 0xfffe
	v_mbcnt_lo_u32_b32 v2, s11, 0
	global_load_b64 v[0:1], v3, s[6:7] offset:16
	v_cmpx_eq_u32_e32 0, v2
	s_cbranch_execz .LBB6_388
; %bb.387:
	s_bcnt1_i32_b32 s11, s11
	s_wait_alu 0xfffe
	v_mov_b32_e32 v2, s11
	global_wb scope:SCOPE_SYS
	s_wait_loadcnt 0x0
	s_wait_storecnt 0x0
	global_atomic_add_u64 v[0:1], v[2:3], off offset:8 scope:SCOPE_SYS
.LBB6_388:
	s_or_b32 exec_lo, exec_lo, s10
	s_wait_loadcnt 0x0
	global_load_b64 v[2:3], v[0:1], off offset:16
	s_wait_loadcnt 0x0
	v_cmp_eq_u64_e32 vcc_lo, 0, v[2:3]
	s_cbranch_vccnz .LBB6_390
; %bb.389:
	global_load_b32 v0, v[0:1], off offset:24
	v_mov_b32_e32 v1, 0
	s_wait_loadcnt 0x0
	v_readfirstlane_b32 s10, v0
	global_wb scope:SCOPE_SYS
	s_wait_storecnt 0x0
	global_store_b64 v[2:3], v[0:1], off scope:SCOPE_SYS
	s_and_b32 m0, s10, 0xffffff
	s_sendmsg sendmsg(MSG_INTERRUPT)
.LBB6_390:
	s_wait_alu 0xfffe
	s_or_b32 exec_lo, exec_lo, s3
	s_branch .LBB6_394
.LBB6_391:                              ;   in Loop: Header=BB6_394 Depth=1
	s_wait_alu 0xfffe
	s_or_b32 exec_lo, exec_lo, s3
	s_delay_alu instid0(VALU_DEP_1)
	v_readfirstlane_b32 s3, v0
	s_cmp_eq_u32 s3, 0
	s_cbranch_scc1 .LBB6_393
; %bb.392:                              ;   in Loop: Header=BB6_394 Depth=1
	s_sleep 1
	s_cbranch_execnz .LBB6_394
	s_branch .LBB6_396
.LBB6_393:
	s_branch .LBB6_396
.LBB6_394:                              ; =>This Inner Loop Header: Depth=1
	v_mov_b32_e32 v0, 1
	s_and_saveexec_b32 s3, s2
	s_cbranch_execz .LBB6_391
; %bb.395:                              ;   in Loop: Header=BB6_394 Depth=1
	global_load_b32 v0, v[8:9], off offset:20 scope:SCOPE_SYS
	s_wait_loadcnt 0x0
	global_inv scope:SCOPE_SYS
	v_and_b32_e32 v0, 1, v0
	s_branch .LBB6_391
.LBB6_396:
	s_and_b32 exec_lo, exec_lo, s2
	s_cbranch_execz .LBB6_400
; %bb.397:
	v_mov_b32_e32 v6, 0
	s_clause 0x2
	global_load_b64 v[0:1], v6, s[6:7] offset:40
	global_load_b64 v[9:10], v6, s[6:7] offset:24 scope:SCOPE_SYS
	global_load_b64 v[2:3], v6, s[6:7]
	s_wait_loadcnt 0x2
	v_readfirstlane_b32 s10, v0
	v_readfirstlane_b32 s11, v1
	s_add_nc_u64 s[2:3], s[10:11], 1
	s_wait_alu 0xfffe
	s_add_nc_u64 s[8:9], s[2:3], s[8:9]
	s_wait_alu 0xfffe
	s_cmp_eq_u64 s[8:9], 0
	s_cselect_b32 s3, s3, s9
	s_cselect_b32 s2, s2, s8
	s_wait_alu 0xfffe
	v_mov_b32_e32 v8, s3
	s_and_b64 s[8:9], s[2:3], s[10:11]
	v_mov_b32_e32 v7, s2
	s_wait_alu 0xfffe
	s_mul_u64 s[8:9], s[8:9], 24
	s_wait_loadcnt 0x0
	s_wait_alu 0xfffe
	v_add_co_u32 v4, vcc_lo, v2, s8
	s_wait_alu 0xfffd
	v_add_co_ci_u32_e64 v5, null, s9, v3, vcc_lo
	global_store_b64 v[4:5], v[9:10], off
	global_wb scope:SCOPE_SYS
	s_wait_storecnt 0x0
	global_atomic_cmpswap_b64 v[2:3], v6, v[7:10], s[6:7] offset:24 th:TH_ATOMIC_RETURN scope:SCOPE_SYS
	s_wait_loadcnt 0x0
	v_cmp_ne_u64_e32 vcc_lo, v[2:3], v[9:10]
	s_and_b32 exec_lo, exec_lo, vcc_lo
	s_cbranch_execz .LBB6_400
; %bb.398:
	s_mov_b32 s8, 0
.LBB6_399:                              ; =>This Inner Loop Header: Depth=1
	v_dual_mov_b32 v0, s2 :: v_dual_mov_b32 v1, s3
	s_sleep 1
	global_store_b64 v[4:5], v[2:3], off
	global_wb scope:SCOPE_SYS
	s_wait_storecnt 0x0
	global_atomic_cmpswap_b64 v[0:1], v6, v[0:3], s[6:7] offset:24 th:TH_ATOMIC_RETURN scope:SCOPE_SYS
	s_wait_loadcnt 0x0
	v_cmp_eq_u64_e32 vcc_lo, v[0:1], v[2:3]
	v_dual_mov_b32 v3, v1 :: v_dual_mov_b32 v2, v0
	s_wait_alu 0xfffe
	s_or_b32 s8, vcc_lo, s8
	s_wait_alu 0xfffe
	s_and_not1_b32 exec_lo, exec_lo, s8
	s_cbranch_execnz .LBB6_399
.LBB6_400:
	s_wait_alu 0xfffe
	s_or_b32 exec_lo, exec_lo, s23
	v_and_b32_e32 v0, 0xffffffe0, v26
	v_and_b32_e32 v4, 31, v26
	s_mov_b32 s2, exec_lo
	s_wait_loadcnt 0x0
	s_wait_storecnt 0x0
	s_barrier_signal -1
	v_ashrrev_i32_e32 v1, 31, v0
	v_lshlrev_b32_e32 v2, 2, v4
	s_barrier_wait -1
	global_inv scope:SCOPE_SE
	v_lshlrev_b64_e32 v[0:1], 2, v[0:1]
	s_delay_alu instid0(VALU_DEP_1) | instskip(SKIP_1) | instid1(VALU_DEP_2)
	v_add_co_u32 v0, vcc_lo, s22, v0
	s_wait_alu 0xfffd
	v_add_co_ci_u32_e64 v1, null, s21, v1, vcc_lo
	s_delay_alu instid0(VALU_DEP_2) | instskip(SKIP_1) | instid1(VALU_DEP_2)
	v_add_co_u32 v2, vcc_lo, v0, v2
	s_wait_alu 0xfffd
	v_add_co_ci_u32_e64 v3, null, 0, v1, vcc_lo
	flat_store_b32 v[2:3], v26
	s_wait_storecnt 0x0
	s_wait_loadcnt_dscnt 0x0
	global_inv scope:SCOPE_DEV
	v_cmpx_gt_u32_e32 16, v4
	s_cbranch_execz .LBB6_402
; %bb.401:
	flat_load_b32 v5, v[2:3] offset:64
	s_wait_loadcnt_dscnt 0x0
	v_add_nc_u32_e32 v31, v5, v26
.LBB6_402:
	s_wait_alu 0xfffe
	s_or_b32 exec_lo, exec_lo, s2
	s_delay_alu instid0(SALU_CYCLE_1)
	s_mov_b32 s2, exec_lo
	s_wait_loadcnt 0x0
	global_inv scope:SCOPE_DEV
	flat_store_b32 v[2:3], v31
	s_wait_storecnt 0x0
	s_wait_loadcnt_dscnt 0x0
	global_inv scope:SCOPE_DEV
	v_cmpx_gt_u32_e32 8, v4
	s_cbranch_execz .LBB6_404
; %bb.403:
	flat_load_b32 v5, v[2:3] offset:32
	s_wait_loadcnt_dscnt 0x0
	v_add_nc_u32_e32 v31, v5, v31
.LBB6_404:
	s_wait_alu 0xfffe
	s_or_b32 exec_lo, exec_lo, s2
	s_delay_alu instid0(SALU_CYCLE_1)
	s_mov_b32 s2, exec_lo
	s_wait_loadcnt 0x0
	global_inv scope:SCOPE_DEV
	;; [unrolled: 17-line block ×3, first 2 shown]
	flat_store_b32 v[2:3], v31
	s_wait_storecnt 0x0
	s_wait_loadcnt_dscnt 0x0
	global_inv scope:SCOPE_DEV
	v_cmpx_gt_u32_e32 2, v4
	s_cbranch_execz .LBB6_408
; %bb.407:
	flat_load_b32 v5, v[2:3] offset:8
	s_wait_loadcnt_dscnt 0x0
	v_add_nc_u32_e32 v31, v5, v31
.LBB6_408:
	s_wait_alu 0xfffe
	s_or_b32 exec_lo, exec_lo, s2
	v_cmp_eq_u32_e64 s2, 0, v4
	s_wait_loadcnt 0x0
	global_inv scope:SCOPE_DEV
	flat_store_b32 v[2:3], v31
	s_wait_storecnt 0x0
	s_wait_loadcnt_dscnt 0x0
	global_inv scope:SCOPE_DEV
	s_and_saveexec_b32 s3, s2
	s_cbranch_execnz .LBB6_411
; %bb.409:
	s_wait_alu 0xfffe
	s_or_b32 exec_lo, exec_lo, s3
	s_wait_loadcnt 0x0
	global_inv scope:SCOPE_DEV
	s_and_saveexec_b32 s3, s2
	s_cbranch_execnz .LBB6_412
.LBB6_410:
	s_endpgm
.LBB6_411:
	flat_load_b32 v0, v[0:1] offset:4
	s_wait_loadcnt_dscnt 0x0
	v_add_nc_u32_e32 v31, v0, v31
	s_wait_alu 0xfffe
	s_or_b32 exec_lo, exec_lo, s3
	global_inv scope:SCOPE_DEV
	s_and_saveexec_b32 s3, s2
	s_cbranch_execz .LBB6_410
.LBB6_412:
	s_load_b64 s[4:5], s[4:5], 0x50
	v_mbcnt_lo_u32_b32 v33, -1, 0
	v_mov_b32_e32 v6, 0
	v_mov_b32_e32 v7, 0
	s_delay_alu instid0(VALU_DEP_3) | instskip(SKIP_1) | instid1(VALU_DEP_1)
	v_readfirstlane_b32 s3, v33
	s_wait_alu 0xf1ff
	v_cmp_eq_u32_e64 s3, s3, v33
	s_and_saveexec_b32 s6, s3
	s_cbranch_execz .LBB6_418
; %bb.413:
	v_mov_b32_e32 v0, 0
	s_mov_b32 s7, exec_lo
	s_wait_kmcnt 0x0
	global_load_b64 v[3:4], v0, s[4:5] offset:24 scope:SCOPE_SYS
	s_wait_loadcnt 0x0
	global_inv scope:SCOPE_SYS
	s_clause 0x1
	global_load_b64 v[1:2], v0, s[4:5] offset:40
	global_load_b64 v[5:6], v0, s[4:5]
	s_wait_loadcnt 0x1
	v_and_b32_e32 v2, v2, v4
	v_and_b32_e32 v1, v1, v3
	s_delay_alu instid0(VALU_DEP_2) | instskip(NEXT) | instid1(VALU_DEP_2)
	v_mul_lo_u32 v2, 24, v2
	v_mul_lo_u32 v7, 0, v1
	v_mul_hi_u32 v8, 24, v1
	v_mul_lo_u32 v1, 24, v1
	s_delay_alu instid0(VALU_DEP_3) | instskip(SKIP_1) | instid1(VALU_DEP_2)
	v_add_nc_u32_e32 v2, v2, v7
	s_wait_loadcnt 0x0
	v_add_co_u32 v1, vcc_lo, v5, v1
	s_delay_alu instid0(VALU_DEP_2) | instskip(SKIP_1) | instid1(VALU_DEP_1)
	v_add_nc_u32_e32 v2, v2, v8
	s_wait_alu 0xfffd
	v_add_co_ci_u32_e64 v2, null, v6, v2, vcc_lo
	global_load_b64 v[1:2], v[1:2], off scope:SCOPE_SYS
	s_wait_loadcnt 0x0
	global_atomic_cmpswap_b64 v[6:7], v0, v[1:4], s[4:5] offset:24 th:TH_ATOMIC_RETURN scope:SCOPE_SYS
	s_wait_loadcnt 0x0
	global_inv scope:SCOPE_SYS
	v_cmpx_ne_u64_e64 v[6:7], v[3:4]
	s_cbranch_execz .LBB6_417
; %bb.414:
	s_mov_b32 s8, 0
.LBB6_415:                              ; =>This Inner Loop Header: Depth=1
	s_sleep 1
	s_clause 0x1
	global_load_b64 v[1:2], v0, s[4:5] offset:40
	global_load_b64 v[8:9], v0, s[4:5]
	v_dual_mov_b32 v3, v6 :: v_dual_mov_b32 v4, v7
	s_wait_loadcnt 0x1
	s_delay_alu instid0(VALU_DEP_1) | instskip(NEXT) | instid1(VALU_DEP_2)
	v_and_b32_e32 v1, v1, v3
	v_and_b32_e32 v2, v2, v4
	s_wait_loadcnt 0x0
	s_delay_alu instid0(VALU_DEP_2) | instskip(NEXT) | instid1(VALU_DEP_1)
	v_mad_co_u64_u32 v[5:6], null, v1, 24, v[8:9]
	v_mov_b32_e32 v1, v6
	s_delay_alu instid0(VALU_DEP_1) | instskip(NEXT) | instid1(VALU_DEP_1)
	v_mad_co_u64_u32 v[1:2], null, v2, 24, v[1:2]
	v_mov_b32_e32 v6, v1
	global_load_b64 v[1:2], v[5:6], off scope:SCOPE_SYS
	s_wait_loadcnt 0x0
	global_atomic_cmpswap_b64 v[6:7], v0, v[1:4], s[4:5] offset:24 th:TH_ATOMIC_RETURN scope:SCOPE_SYS
	s_wait_loadcnt 0x0
	global_inv scope:SCOPE_SYS
	v_cmp_eq_u64_e32 vcc_lo, v[6:7], v[3:4]
	s_wait_alu 0xfffe
	s_or_b32 s8, vcc_lo, s8
	s_wait_alu 0xfffe
	s_and_not1_b32 exec_lo, exec_lo, s8
	s_cbranch_execnz .LBB6_415
; %bb.416:
	s_or_b32 exec_lo, exec_lo, s8
.LBB6_417:
	s_wait_alu 0xfffe
	s_or_b32 exec_lo, exec_lo, s7
.LBB6_418:
	s_wait_alu 0xfffe
	s_or_b32 exec_lo, exec_lo, s6
	v_readfirstlane_b32 s6, v6
	v_mov_b32_e32 v5, 0
	v_readfirstlane_b32 s7, v7
	s_mov_b32 s8, exec_lo
	s_wait_kmcnt 0x0
	s_clause 0x1
	global_load_b64 v[8:9], v5, s[4:5] offset:40
	global_load_b128 v[0:3], v5, s[4:5]
	s_wait_loadcnt 0x1
	s_wait_alu 0xf1ff
	v_and_b32_e32 v11, s7, v9
	v_and_b32_e32 v10, s6, v8
	s_delay_alu instid0(VALU_DEP_2) | instskip(NEXT) | instid1(VALU_DEP_2)
	v_mul_lo_u32 v4, 24, v11
	v_mul_lo_u32 v6, 0, v10
	v_mul_hi_u32 v7, 24, v10
	v_mul_lo_u32 v8, 24, v10
	s_delay_alu instid0(VALU_DEP_3) | instskip(SKIP_1) | instid1(VALU_DEP_2)
	v_add_nc_u32_e32 v4, v4, v6
	s_wait_loadcnt 0x0
	v_add_co_u32 v8, vcc_lo, v0, v8
	s_delay_alu instid0(VALU_DEP_2) | instskip(SKIP_1) | instid1(VALU_DEP_1)
	v_add_nc_u32_e32 v4, v4, v7
	s_wait_alu 0xfffd
	v_add_co_ci_u32_e64 v9, null, v1, v4, vcc_lo
	s_and_saveexec_b32 s9, s3
	s_cbranch_execz .LBB6_420
; %bb.419:
	s_wait_alu 0xfffe
	v_dual_mov_b32 v4, s8 :: v_dual_mov_b32 v7, 1
	v_mov_b32_e32 v6, 2
	global_store_b128 v[8:9], v[4:7], off offset:8
.LBB6_420:
	s_wait_alu 0xfffe
	s_or_b32 exec_lo, exec_lo, s9
	v_lshlrev_b64_e32 v[10:11], 12, v[10:11]
	v_dual_mov_b32 v7, v5 :: v_dual_lshlrev_b32 v32, 6, v33
	s_mov_b32 s8, 0
	s_wait_alu 0xfffe
	s_mov_b32 s11, s8
	s_delay_alu instid0(VALU_DEP_2)
	v_add_co_u32 v2, vcc_lo, v2, v10
	s_wait_alu 0xfffd
	v_add_co_ci_u32_e64 v3, null, v3, v11, vcc_lo
	s_mov_b32 s9, s8
	v_add_co_u32 v10, vcc_lo, v2, v32
	s_mov_b32 s10, s8
	s_wait_alu 0xfffe
	v_dual_mov_b32 v4, 33 :: v_dual_mov_b32 v15, s11
	v_dual_mov_b32 v6, v5 :: v_dual_mov_b32 v13, s9
	v_readfirstlane_b32 s12, v2
	v_readfirstlane_b32 s13, v3
	s_wait_alu 0xfffd
	v_add_co_ci_u32_e64 v11, null, 0, v3, vcc_lo
	v_mov_b32_e32 v14, s10
	v_mov_b32_e32 v12, s8
	s_clause 0x3
	global_store_b128 v32, v[4:7], s[12:13]
	global_store_b128 v32, v[12:15], s[12:13] offset:16
	global_store_b128 v32, v[12:15], s[12:13] offset:32
	global_store_b128 v32, v[12:15], s[12:13] offset:48
	s_and_saveexec_b32 s8, s3
	s_cbranch_execz .LBB6_428
; %bb.421:
	v_mov_b32_e32 v6, 0
	s_mov_b32 s9, exec_lo
	s_clause 0x1
	global_load_b64 v[14:15], v6, s[4:5] offset:32 scope:SCOPE_SYS
	global_load_b64 v[2:3], v6, s[4:5] offset:40
	v_dual_mov_b32 v13, s7 :: v_dual_mov_b32 v12, s6
	s_wait_loadcnt 0x0
	v_and_b32_e32 v3, s7, v3
	v_and_b32_e32 v2, s6, v2
	s_delay_alu instid0(VALU_DEP_2) | instskip(NEXT) | instid1(VALU_DEP_2)
	v_mul_lo_u32 v3, 24, v3
	v_mul_lo_u32 v4, 0, v2
	v_mul_hi_u32 v5, 24, v2
	v_mul_lo_u32 v2, 24, v2
	s_delay_alu instid0(VALU_DEP_3) | instskip(NEXT) | instid1(VALU_DEP_2)
	v_add_nc_u32_e32 v3, v3, v4
	v_add_co_u32 v4, vcc_lo, v0, v2
	s_delay_alu instid0(VALU_DEP_2) | instskip(SKIP_1) | instid1(VALU_DEP_1)
	v_add_nc_u32_e32 v3, v3, v5
	s_wait_alu 0xfffd
	v_add_co_ci_u32_e64 v5, null, v1, v3, vcc_lo
	global_store_b64 v[4:5], v[14:15], off
	global_wb scope:SCOPE_SYS
	s_wait_storecnt 0x0
	global_atomic_cmpswap_b64 v[2:3], v6, v[12:15], s[4:5] offset:32 th:TH_ATOMIC_RETURN scope:SCOPE_SYS
	s_wait_loadcnt 0x0
	v_cmpx_ne_u64_e64 v[2:3], v[14:15]
	s_cbranch_execz .LBB6_424
; %bb.422:
	s_mov_b32 s10, 0
.LBB6_423:                              ; =>This Inner Loop Header: Depth=1
	v_dual_mov_b32 v0, s6 :: v_dual_mov_b32 v1, s7
	s_sleep 1
	global_store_b64 v[4:5], v[2:3], off
	global_wb scope:SCOPE_SYS
	s_wait_storecnt 0x0
	global_atomic_cmpswap_b64 v[0:1], v6, v[0:3], s[4:5] offset:32 th:TH_ATOMIC_RETURN scope:SCOPE_SYS
	s_wait_loadcnt 0x0
	v_cmp_eq_u64_e32 vcc_lo, v[0:1], v[2:3]
	v_dual_mov_b32 v3, v1 :: v_dual_mov_b32 v2, v0
	s_wait_alu 0xfffe
	s_or_b32 s10, vcc_lo, s10
	s_wait_alu 0xfffe
	s_and_not1_b32 exec_lo, exec_lo, s10
	s_cbranch_execnz .LBB6_423
.LBB6_424:
	s_wait_alu 0xfffe
	s_or_b32 exec_lo, exec_lo, s9
	v_mov_b32_e32 v3, 0
	s_mov_b32 s10, exec_lo
	s_mov_b32 s9, exec_lo
	s_wait_alu 0xfffe
	v_mbcnt_lo_u32_b32 v2, s10, 0
	global_load_b64 v[0:1], v3, s[4:5] offset:16
	v_cmpx_eq_u32_e32 0, v2
	s_cbranch_execz .LBB6_426
; %bb.425:
	s_bcnt1_i32_b32 s10, s10
	s_wait_alu 0xfffe
	v_mov_b32_e32 v2, s10
	global_wb scope:SCOPE_SYS
	s_wait_loadcnt 0x0
	s_wait_storecnt 0x0
	global_atomic_add_u64 v[0:1], v[2:3], off offset:8 scope:SCOPE_SYS
.LBB6_426:
	s_or_b32 exec_lo, exec_lo, s9
	s_wait_loadcnt 0x0
	global_load_b64 v[2:3], v[0:1], off offset:16
	s_wait_loadcnt 0x0
	v_cmp_eq_u64_e32 vcc_lo, 0, v[2:3]
	s_cbranch_vccnz .LBB6_428
; %bb.427:
	global_load_b32 v0, v[0:1], off offset:24
	v_mov_b32_e32 v1, 0
	s_wait_loadcnt 0x0
	v_readfirstlane_b32 s9, v0
	global_wb scope:SCOPE_SYS
	s_wait_storecnt 0x0
	global_store_b64 v[2:3], v[0:1], off scope:SCOPE_SYS
	s_and_b32 m0, s9, 0xffffff
	s_sendmsg sendmsg(MSG_INTERRUPT)
.LBB6_428:
	s_wait_alu 0xfffe
	s_or_b32 exec_lo, exec_lo, s8
	s_branch .LBB6_432
.LBB6_429:                              ;   in Loop: Header=BB6_432 Depth=1
	s_wait_alu 0xfffe
	s_or_b32 exec_lo, exec_lo, s8
	s_delay_alu instid0(VALU_DEP_1)
	v_readfirstlane_b32 s8, v0
	s_cmp_eq_u32 s8, 0
	s_cbranch_scc1 .LBB6_431
; %bb.430:                              ;   in Loop: Header=BB6_432 Depth=1
	s_sleep 1
	s_cbranch_execnz .LBB6_432
	s_branch .LBB6_434
.LBB6_431:
	s_branch .LBB6_434
.LBB6_432:                              ; =>This Inner Loop Header: Depth=1
	v_mov_b32_e32 v0, 1
	s_and_saveexec_b32 s8, s3
	s_cbranch_execz .LBB6_429
; %bb.433:                              ;   in Loop: Header=BB6_432 Depth=1
	global_load_b32 v0, v[8:9], off offset:20 scope:SCOPE_SYS
	s_wait_loadcnt 0x0
	global_inv scope:SCOPE_SYS
	v_and_b32_e32 v0, 1, v0
	s_branch .LBB6_429
.LBB6_434:
	global_load_b64 v[0:1], v[10:11], off
	s_and_saveexec_b32 s8, s3
	s_cbranch_execz .LBB6_438
; %bb.435:
	v_mov_b32_e32 v8, 0
	s_clause 0x2
	global_load_b64 v[2:3], v8, s[4:5] offset:40
	global_load_b64 v[11:12], v8, s[4:5] offset:24 scope:SCOPE_SYS
	global_load_b64 v[4:5], v8, s[4:5]
	s_wait_loadcnt 0x2
	v_readfirstlane_b32 s10, v2
	v_readfirstlane_b32 s11, v3
	s_add_nc_u64 s[12:13], s[10:11], 1
	s_wait_alu 0xfffe
	s_add_nc_u64 s[6:7], s[12:13], s[6:7]
	s_wait_alu 0xfffe
	s_cmp_eq_u64 s[6:7], 0
	s_cselect_b32 s7, s13, s7
	s_cselect_b32 s6, s12, s6
	s_wait_alu 0xfffe
	v_mov_b32_e32 v10, s7
	s_and_b64 s[10:11], s[6:7], s[10:11]
	v_mov_b32_e32 v9, s6
	s_wait_alu 0xfffe
	s_mul_u64 s[10:11], s[10:11], 24
	s_wait_loadcnt 0x0
	s_wait_alu 0xfffe
	v_add_co_u32 v6, vcc_lo, v4, s10
	s_wait_alu 0xfffd
	v_add_co_ci_u32_e64 v7, null, s11, v5, vcc_lo
	global_store_b64 v[6:7], v[11:12], off
	global_wb scope:SCOPE_SYS
	s_wait_storecnt 0x0
	global_atomic_cmpswap_b64 v[4:5], v8, v[9:12], s[4:5] offset:24 th:TH_ATOMIC_RETURN scope:SCOPE_SYS
	s_wait_loadcnt 0x0
	v_cmp_ne_u64_e32 vcc_lo, v[4:5], v[11:12]
	s_and_b32 exec_lo, exec_lo, vcc_lo
	s_cbranch_execz .LBB6_438
; %bb.436:
	s_mov_b32 s3, 0
.LBB6_437:                              ; =>This Inner Loop Header: Depth=1
	v_dual_mov_b32 v2, s6 :: v_dual_mov_b32 v3, s7
	s_sleep 1
	global_store_b64 v[6:7], v[4:5], off
	global_wb scope:SCOPE_SYS
	s_wait_storecnt 0x0
	global_atomic_cmpswap_b64 v[2:3], v8, v[2:5], s[4:5] offset:24 th:TH_ATOMIC_RETURN scope:SCOPE_SYS
	s_wait_loadcnt 0x0
	v_cmp_eq_u64_e32 vcc_lo, v[2:3], v[4:5]
	v_dual_mov_b32 v5, v3 :: v_dual_mov_b32 v4, v2
	s_wait_alu 0xfffe
	s_or_b32 s3, vcc_lo, s3
	s_wait_alu 0xfffe
	s_and_not1_b32 exec_lo, exec_lo, s3
	s_cbranch_execnz .LBB6_437
.LBB6_438:
	s_wait_alu 0xfffe
	s_or_b32 exec_lo, exec_lo, s8
	s_getpc_b64 s[6:7]
	s_wait_alu 0xfffe
	s_sext_i32_i16 s7, s7
	s_add_co_u32 s6, s6, .str.9@rel32@lo+12
	s_wait_alu 0xfffe
	s_add_co_ci_u32 s7, s7, .str.9@rel32@hi+24
	s_wait_alu 0xfffe
	s_cmp_lg_u64 s[6:7], 0
	s_cselect_b32 s3, -1, 0
	s_cmp_eq_u64 s[6:7], 0
	s_mov_b64 s[6:7], 0
	s_cbranch_scc1 .LBB6_442
; %bb.439:
	s_getpc_b64 s[6:7]
	s_wait_alu 0xfffe
	s_sext_i32_i16 s7, s7
	s_add_co_u32 s6, s6, .str.9@rel32@lo+11
	s_wait_alu 0xfffe
	s_add_co_ci_u32 s7, s7, .str.9@rel32@hi+23
.LBB6_440:                              ; =>This Inner Loop Header: Depth=1
	s_load_u8 s8, s[6:7], 0x1
	s_add_nc_u64 s[6:7], s[6:7], 1
	s_wait_kmcnt 0x0
	s_cmp_lg_u32 s8, 0
	s_cbranch_scc1 .LBB6_440
; %bb.441:
	s_getpc_b64 s[8:9]
	s_wait_alu 0xfffe
	s_sext_i32_i16 s9, s9
	s_add_co_u32 s8, s8, .str.9@rel32@lo+12
	s_wait_alu 0xfffe
	s_add_co_ci_u32 s9, s9, .str.9@rel32@hi+24
	s_wait_alu 0xfffe
	s_sub_nc_u64 s[6:7], s[6:7], s[8:9]
	s_wait_alu 0xfffe
	s_add_nc_u64 s[6:7], s[6:7], 1
.LBB6_442:
	s_wait_alu 0xfffe
	s_and_b32 vcc_lo, exec_lo, s3
	s_wait_alu 0xfffe
	s_cbranch_vccz .LBB6_521
; %bb.443:
	s_wait_loadcnt 0x0
	v_dual_mov_b32 v7, 0 :: v_dual_and_b32 v34, 2, v0
	v_dual_mov_b32 v3, v1 :: v_dual_and_b32 v2, -3, v0
	v_dual_mov_b32 v8, 2 :: v_dual_mov_b32 v9, 1
	s_getpc_b64 s[8:9]
	s_wait_alu 0xfffe
	s_sext_i32_i16 s9, s9
	s_add_co_u32 s8, s8, .str.9@rel32@lo+12
	s_wait_alu 0xfffe
	s_add_co_ci_u32 s9, s9, .str.9@rel32@hi+24
	s_branch .LBB6_445
.LBB6_444:                              ;   in Loop: Header=BB6_445 Depth=1
	s_wait_alu 0xfffe
	s_or_b32 exec_lo, exec_lo, s14
	s_sub_nc_u64 s[6:7], s[6:7], s[10:11]
	s_add_nc_u64 s[8:9], s[8:9], s[10:11]
	s_wait_alu 0xfffe
	s_cmp_lg_u64 s[6:7], 0
	s_cbranch_scc0 .LBB6_520
.LBB6_445:                              ; =>This Loop Header: Depth=1
                                        ;     Child Loop BB6_448 Depth 2
                                        ;     Child Loop BB6_455 Depth 2
	;; [unrolled: 1-line block ×11, first 2 shown]
	v_cmp_lt_u64_e64 s3, s[6:7], 56
	v_cmp_gt_u64_e64 s12, s[6:7], 7
	s_and_b32 s3, s3, exec_lo
	s_cselect_b32 s11, s7, 0
	s_cselect_b32 s10, s6, 56
	s_and_b32 vcc_lo, exec_lo, s12
	s_wait_alu 0xfffe
	s_cbranch_vccnz .LBB6_450
; %bb.446:                              ;   in Loop: Header=BB6_445 Depth=1
	v_mov_b32_e32 v4, 0
	v_mov_b32_e32 v5, 0
	s_cmp_eq_u64 s[6:7], 0
	s_cbranch_scc1 .LBB6_449
; %bb.447:                              ;   in Loop: Header=BB6_445 Depth=1
	s_mov_b64 s[12:13], 0
	s_mov_b64 s[14:15], 0
.LBB6_448:                              ;   Parent Loop BB6_445 Depth=1
                                        ; =>  This Inner Loop Header: Depth=2
	s_wait_alu 0xfffe
	s_add_nc_u64 s[16:17], s[8:9], s[14:15]
	s_add_nc_u64 s[14:15], s[14:15], 1
	global_load_u8 v6, v7, s[16:17]
	s_wait_alu 0xfffe
	s_cmp_lg_u32 s10, s14
	s_wait_loadcnt 0x0
	v_and_b32_e32 v6, 0xffff, v6
	s_delay_alu instid0(VALU_DEP_1) | instskip(SKIP_1) | instid1(VALU_DEP_1)
	v_lshlrev_b64_e32 v[10:11], s12, v[6:7]
	s_add_nc_u64 s[12:13], s[12:13], 8
	v_or_b32_e32 v4, v10, v4
	s_delay_alu instid0(VALU_DEP_2)
	v_or_b32_e32 v5, v11, v5
	s_cbranch_scc1 .LBB6_448
.LBB6_449:                              ;   in Loop: Header=BB6_445 Depth=1
	s_mov_b64 s[14:15], s[8:9]
	s_mov_b32 s3, 0
	s_cbranch_execz .LBB6_451
	s_branch .LBB6_452
.LBB6_450:                              ;   in Loop: Header=BB6_445 Depth=1
	s_add_nc_u64 s[14:15], s[8:9], 8
	s_mov_b32 s3, 0
.LBB6_451:                              ;   in Loop: Header=BB6_445 Depth=1
	global_load_b64 v[4:5], v7, s[8:9]
	s_add_co_i32 s3, s10, -8
.LBB6_452:                              ;   in Loop: Header=BB6_445 Depth=1
	s_wait_alu 0xfffe
	s_cmp_gt_u32 s3, 7
	s_cbranch_scc1 .LBB6_457
; %bb.453:                              ;   in Loop: Header=BB6_445 Depth=1
	v_mov_b32_e32 v10, 0
	v_mov_b32_e32 v11, 0
	s_cmp_eq_u32 s3, 0
	s_cbranch_scc1 .LBB6_456
; %bb.454:                              ;   in Loop: Header=BB6_445 Depth=1
	s_mov_b64 s[12:13], 0
	s_mov_b64 s[16:17], 0
.LBB6_455:                              ;   Parent Loop BB6_445 Depth=1
                                        ; =>  This Inner Loop Header: Depth=2
	s_wait_alu 0xfffe
	s_add_nc_u64 s[18:19], s[14:15], s[16:17]
	s_add_nc_u64 s[16:17], s[16:17], 1
	global_load_u8 v6, v7, s[18:19]
	s_wait_alu 0xfffe
	s_cmp_lg_u32 s3, s16
	s_wait_loadcnt 0x0
	v_and_b32_e32 v6, 0xffff, v6
	s_delay_alu instid0(VALU_DEP_1) | instskip(SKIP_1) | instid1(VALU_DEP_1)
	v_lshlrev_b64_e32 v[12:13], s12, v[6:7]
	s_add_nc_u64 s[12:13], s[12:13], 8
	v_or_b32_e32 v10, v12, v10
	s_delay_alu instid0(VALU_DEP_2)
	v_or_b32_e32 v11, v13, v11
	s_cbranch_scc1 .LBB6_455
.LBB6_456:                              ;   in Loop: Header=BB6_445 Depth=1
	s_mov_b64 s[12:13], s[14:15]
	s_mov_b32 s18, 0
	s_cbranch_execz .LBB6_458
	s_branch .LBB6_459
.LBB6_457:                              ;   in Loop: Header=BB6_445 Depth=1
	s_add_nc_u64 s[12:13], s[14:15], 8
                                        ; implicit-def: $vgpr10_vgpr11
	s_mov_b32 s18, 0
.LBB6_458:                              ;   in Loop: Header=BB6_445 Depth=1
	global_load_b64 v[10:11], v7, s[14:15]
	s_add_co_i32 s18, s3, -8
.LBB6_459:                              ;   in Loop: Header=BB6_445 Depth=1
	s_wait_alu 0xfffe
	s_cmp_gt_u32 s18, 7
	s_cbranch_scc1 .LBB6_464
; %bb.460:                              ;   in Loop: Header=BB6_445 Depth=1
	v_mov_b32_e32 v12, 0
	v_mov_b32_e32 v13, 0
	s_cmp_eq_u32 s18, 0
	s_cbranch_scc1 .LBB6_463
; %bb.461:                              ;   in Loop: Header=BB6_445 Depth=1
	s_mov_b64 s[14:15], 0
	s_mov_b64 s[16:17], 0
.LBB6_462:                              ;   Parent Loop BB6_445 Depth=1
                                        ; =>  This Inner Loop Header: Depth=2
	s_wait_alu 0xfffe
	s_add_nc_u64 s[22:23], s[12:13], s[16:17]
	s_add_nc_u64 s[16:17], s[16:17], 1
	global_load_u8 v6, v7, s[22:23]
	s_wait_alu 0xfffe
	s_cmp_lg_u32 s18, s16
	s_wait_loadcnt 0x0
	v_and_b32_e32 v6, 0xffff, v6
	s_delay_alu instid0(VALU_DEP_1) | instskip(SKIP_1) | instid1(VALU_DEP_1)
	v_lshlrev_b64_e32 v[14:15], s14, v[6:7]
	s_add_nc_u64 s[14:15], s[14:15], 8
	v_or_b32_e32 v12, v14, v12
	s_delay_alu instid0(VALU_DEP_2)
	v_or_b32_e32 v13, v15, v13
	s_cbranch_scc1 .LBB6_462
.LBB6_463:                              ;   in Loop: Header=BB6_445 Depth=1
	s_mov_b64 s[14:15], s[12:13]
	s_mov_b32 s3, 0
	s_cbranch_execz .LBB6_465
	s_branch .LBB6_466
.LBB6_464:                              ;   in Loop: Header=BB6_445 Depth=1
	s_add_nc_u64 s[14:15], s[12:13], 8
	s_mov_b32 s3, 0
.LBB6_465:                              ;   in Loop: Header=BB6_445 Depth=1
	global_load_b64 v[12:13], v7, s[12:13]
	s_add_co_i32 s3, s18, -8
.LBB6_466:                              ;   in Loop: Header=BB6_445 Depth=1
	s_wait_alu 0xfffe
	s_cmp_gt_u32 s3, 7
	s_cbranch_scc1 .LBB6_471
; %bb.467:                              ;   in Loop: Header=BB6_445 Depth=1
	v_mov_b32_e32 v14, 0
	v_mov_b32_e32 v15, 0
	s_cmp_eq_u32 s3, 0
	s_cbranch_scc1 .LBB6_470
; %bb.468:                              ;   in Loop: Header=BB6_445 Depth=1
	s_mov_b64 s[12:13], 0
	s_mov_b64 s[16:17], 0
.LBB6_469:                              ;   Parent Loop BB6_445 Depth=1
                                        ; =>  This Inner Loop Header: Depth=2
	s_wait_alu 0xfffe
	s_add_nc_u64 s[18:19], s[14:15], s[16:17]
	s_add_nc_u64 s[16:17], s[16:17], 1
	global_load_u8 v6, v7, s[18:19]
	s_wait_alu 0xfffe
	s_cmp_lg_u32 s3, s16
	s_wait_loadcnt 0x0
	v_and_b32_e32 v6, 0xffff, v6
	s_delay_alu instid0(VALU_DEP_1) | instskip(SKIP_1) | instid1(VALU_DEP_1)
	v_lshlrev_b64_e32 v[16:17], s12, v[6:7]
	s_add_nc_u64 s[12:13], s[12:13], 8
	v_or_b32_e32 v14, v16, v14
	s_delay_alu instid0(VALU_DEP_2)
	v_or_b32_e32 v15, v17, v15
	s_cbranch_scc1 .LBB6_469
.LBB6_470:                              ;   in Loop: Header=BB6_445 Depth=1
	s_mov_b64 s[12:13], s[14:15]
	s_mov_b32 s18, 0
	s_cbranch_execz .LBB6_472
	s_branch .LBB6_473
.LBB6_471:                              ;   in Loop: Header=BB6_445 Depth=1
	s_add_nc_u64 s[12:13], s[14:15], 8
                                        ; implicit-def: $vgpr14_vgpr15
	s_mov_b32 s18, 0
.LBB6_472:                              ;   in Loop: Header=BB6_445 Depth=1
	global_load_b64 v[14:15], v7, s[14:15]
	s_add_co_i32 s18, s3, -8
.LBB6_473:                              ;   in Loop: Header=BB6_445 Depth=1
	s_wait_alu 0xfffe
	s_cmp_gt_u32 s18, 7
	s_cbranch_scc1 .LBB6_478
; %bb.474:                              ;   in Loop: Header=BB6_445 Depth=1
	v_mov_b32_e32 v16, 0
	v_mov_b32_e32 v17, 0
	s_cmp_eq_u32 s18, 0
	s_cbranch_scc1 .LBB6_477
; %bb.475:                              ;   in Loop: Header=BB6_445 Depth=1
	s_mov_b64 s[14:15], 0
	s_mov_b64 s[16:17], 0
.LBB6_476:                              ;   Parent Loop BB6_445 Depth=1
                                        ; =>  This Inner Loop Header: Depth=2
	s_wait_alu 0xfffe
	s_add_nc_u64 s[22:23], s[12:13], s[16:17]
	s_add_nc_u64 s[16:17], s[16:17], 1
	global_load_u8 v6, v7, s[22:23]
	s_wait_alu 0xfffe
	s_cmp_lg_u32 s18, s16
	s_wait_loadcnt 0x0
	v_and_b32_e32 v6, 0xffff, v6
	s_delay_alu instid0(VALU_DEP_1) | instskip(SKIP_1) | instid1(VALU_DEP_1)
	v_lshlrev_b64_e32 v[18:19], s14, v[6:7]
	s_add_nc_u64 s[14:15], s[14:15], 8
	v_or_b32_e32 v16, v18, v16
	s_delay_alu instid0(VALU_DEP_2)
	v_or_b32_e32 v17, v19, v17
	s_cbranch_scc1 .LBB6_476
.LBB6_477:                              ;   in Loop: Header=BB6_445 Depth=1
	s_mov_b64 s[14:15], s[12:13]
	s_mov_b32 s3, 0
	s_cbranch_execz .LBB6_479
	s_branch .LBB6_480
.LBB6_478:                              ;   in Loop: Header=BB6_445 Depth=1
	s_add_nc_u64 s[14:15], s[12:13], 8
	s_mov_b32 s3, 0
.LBB6_479:                              ;   in Loop: Header=BB6_445 Depth=1
	global_load_b64 v[16:17], v7, s[12:13]
	s_add_co_i32 s3, s18, -8
.LBB6_480:                              ;   in Loop: Header=BB6_445 Depth=1
	s_wait_alu 0xfffe
	s_cmp_gt_u32 s3, 7
	s_cbranch_scc1 .LBB6_485
; %bb.481:                              ;   in Loop: Header=BB6_445 Depth=1
	v_mov_b32_e32 v18, 0
	v_mov_b32_e32 v19, 0
	s_cmp_eq_u32 s3, 0
	s_cbranch_scc1 .LBB6_484
; %bb.482:                              ;   in Loop: Header=BB6_445 Depth=1
	s_mov_b64 s[12:13], 0
	s_mov_b64 s[16:17], 0
.LBB6_483:                              ;   Parent Loop BB6_445 Depth=1
                                        ; =>  This Inner Loop Header: Depth=2
	s_wait_alu 0xfffe
	s_add_nc_u64 s[18:19], s[14:15], s[16:17]
	s_add_nc_u64 s[16:17], s[16:17], 1
	global_load_u8 v6, v7, s[18:19]
	s_wait_alu 0xfffe
	s_cmp_lg_u32 s3, s16
	s_wait_loadcnt 0x0
	v_and_b32_e32 v6, 0xffff, v6
	s_delay_alu instid0(VALU_DEP_1) | instskip(SKIP_1) | instid1(VALU_DEP_1)
	v_lshlrev_b64_e32 v[20:21], s12, v[6:7]
	s_add_nc_u64 s[12:13], s[12:13], 8
	v_or_b32_e32 v18, v20, v18
	s_delay_alu instid0(VALU_DEP_2)
	v_or_b32_e32 v19, v21, v19
	s_cbranch_scc1 .LBB6_483
.LBB6_484:                              ;   in Loop: Header=BB6_445 Depth=1
	s_mov_b64 s[12:13], s[14:15]
	s_mov_b32 s18, 0
	s_cbranch_execz .LBB6_486
	s_branch .LBB6_487
.LBB6_485:                              ;   in Loop: Header=BB6_445 Depth=1
	s_add_nc_u64 s[12:13], s[14:15], 8
                                        ; implicit-def: $vgpr18_vgpr19
	s_mov_b32 s18, 0
.LBB6_486:                              ;   in Loop: Header=BB6_445 Depth=1
	global_load_b64 v[18:19], v7, s[14:15]
	s_add_co_i32 s18, s3, -8
.LBB6_487:                              ;   in Loop: Header=BB6_445 Depth=1
	s_wait_alu 0xfffe
	s_cmp_gt_u32 s18, 7
	s_cbranch_scc1 .LBB6_492
; %bb.488:                              ;   in Loop: Header=BB6_445 Depth=1
	v_mov_b32_e32 v20, 0
	v_mov_b32_e32 v21, 0
	s_cmp_eq_u32 s18, 0
	s_cbranch_scc1 .LBB6_491
; %bb.489:                              ;   in Loop: Header=BB6_445 Depth=1
	s_mov_b64 s[14:15], 0
	s_mov_b64 s[16:17], s[12:13]
.LBB6_490:                              ;   Parent Loop BB6_445 Depth=1
                                        ; =>  This Inner Loop Header: Depth=2
	global_load_u8 v6, v7, s[16:17]
	s_add_co_i32 s18, s18, -1
	s_wait_alu 0xfffe
	s_add_nc_u64 s[16:17], s[16:17], 1
	s_cmp_lg_u32 s18, 0
	s_wait_loadcnt 0x0
	v_and_b32_e32 v6, 0xffff, v6
	s_delay_alu instid0(VALU_DEP_1) | instskip(SKIP_1) | instid1(VALU_DEP_1)
	v_lshlrev_b64_e32 v[22:23], s14, v[6:7]
	s_add_nc_u64 s[14:15], s[14:15], 8
	v_or_b32_e32 v20, v22, v20
	s_delay_alu instid0(VALU_DEP_2)
	v_or_b32_e32 v21, v23, v21
	s_cbranch_scc1 .LBB6_490
.LBB6_491:                              ;   in Loop: Header=BB6_445 Depth=1
	s_cbranch_execz .LBB6_493
	s_branch .LBB6_494
.LBB6_492:                              ;   in Loop: Header=BB6_445 Depth=1
.LBB6_493:                              ;   in Loop: Header=BB6_445 Depth=1
	global_load_b64 v[20:21], v7, s[12:13]
.LBB6_494:                              ;   in Loop: Header=BB6_445 Depth=1
	v_readfirstlane_b32 s3, v33
	v_mov_b32_e32 v27, 0
	v_mov_b32_e32 v28, 0
	s_wait_alu 0xf1ff
	s_delay_alu instid0(VALU_DEP_3)
	v_cmp_eq_u32_e64 s3, s3, v33
	s_and_saveexec_b32 s12, s3
	s_cbranch_execz .LBB6_500
; %bb.495:                              ;   in Loop: Header=BB6_445 Depth=1
	global_load_b64 v[24:25], v7, s[4:5] offset:24 scope:SCOPE_SYS
	s_wait_loadcnt 0x0
	global_inv scope:SCOPE_SYS
	s_clause 0x1
	global_load_b64 v[22:23], v7, s[4:5] offset:40
	global_load_b64 v[27:28], v7, s[4:5]
	s_mov_b32 s13, exec_lo
	s_wait_loadcnt 0x1
	v_and_b32_e32 v6, v23, v25
	v_and_b32_e32 v22, v22, v24
	s_delay_alu instid0(VALU_DEP_2) | instskip(NEXT) | instid1(VALU_DEP_2)
	v_mul_lo_u32 v6, 24, v6
	v_mul_lo_u32 v23, 0, v22
	v_mul_hi_u32 v29, 24, v22
	v_mul_lo_u32 v22, 24, v22
	s_delay_alu instid0(VALU_DEP_3) | instskip(SKIP_1) | instid1(VALU_DEP_2)
	v_add_nc_u32_e32 v6, v6, v23
	s_wait_loadcnt 0x0
	v_add_co_u32 v22, vcc_lo, v27, v22
	s_delay_alu instid0(VALU_DEP_2) | instskip(SKIP_1) | instid1(VALU_DEP_1)
	v_add_nc_u32_e32 v6, v6, v29
	s_wait_alu 0xfffd
	v_add_co_ci_u32_e64 v23, null, v28, v6, vcc_lo
	global_load_b64 v[22:23], v[22:23], off scope:SCOPE_SYS
	s_wait_loadcnt 0x0
	global_atomic_cmpswap_b64 v[27:28], v7, v[22:25], s[4:5] offset:24 th:TH_ATOMIC_RETURN scope:SCOPE_SYS
	s_wait_loadcnt 0x0
	global_inv scope:SCOPE_SYS
	v_cmpx_ne_u64_e64 v[27:28], v[24:25]
	s_cbranch_execz .LBB6_499
; %bb.496:                              ;   in Loop: Header=BB6_445 Depth=1
	s_mov_b32 s14, 0
.LBB6_497:                              ;   Parent Loop BB6_445 Depth=1
                                        ; =>  This Inner Loop Header: Depth=2
	s_sleep 1
	s_clause 0x1
	global_load_b64 v[22:23], v7, s[4:5] offset:40
	global_load_b64 v[29:30], v7, s[4:5]
	v_dual_mov_b32 v24, v27 :: v_dual_mov_b32 v25, v28
	s_wait_loadcnt 0x1
	s_delay_alu instid0(VALU_DEP_1) | instskip(NEXT) | instid1(VALU_DEP_2)
	v_and_b32_e32 v6, v22, v24
	v_and_b32_e32 v22, v23, v25
	s_wait_loadcnt 0x0
	s_delay_alu instid0(VALU_DEP_2) | instskip(NEXT) | instid1(VALU_DEP_1)
	v_mad_co_u64_u32 v[27:28], null, v6, 24, v[29:30]
	v_mov_b32_e32 v6, v28
	s_delay_alu instid0(VALU_DEP_1) | instskip(NEXT) | instid1(VALU_DEP_1)
	v_mad_co_u64_u32 v[22:23], null, v22, 24, v[6:7]
	v_mov_b32_e32 v28, v22
	global_load_b64 v[22:23], v[27:28], off scope:SCOPE_SYS
	s_wait_loadcnt 0x0
	global_atomic_cmpswap_b64 v[27:28], v7, v[22:25], s[4:5] offset:24 th:TH_ATOMIC_RETURN scope:SCOPE_SYS
	s_wait_loadcnt 0x0
	global_inv scope:SCOPE_SYS
	v_cmp_eq_u64_e32 vcc_lo, v[27:28], v[24:25]
	s_wait_alu 0xfffe
	s_or_b32 s14, vcc_lo, s14
	s_wait_alu 0xfffe
	s_and_not1_b32 exec_lo, exec_lo, s14
	s_cbranch_execnz .LBB6_497
; %bb.498:                              ;   in Loop: Header=BB6_445 Depth=1
	s_or_b32 exec_lo, exec_lo, s14
.LBB6_499:                              ;   in Loop: Header=BB6_445 Depth=1
	s_wait_alu 0xfffe
	s_or_b32 exec_lo, exec_lo, s13
.LBB6_500:                              ;   in Loop: Header=BB6_445 Depth=1
	s_wait_alu 0xfffe
	s_or_b32 exec_lo, exec_lo, s12
	s_clause 0x1
	global_load_b64 v[29:30], v7, s[4:5] offset:40
	global_load_b128 v[22:25], v7, s[4:5]
	v_readfirstlane_b32 s13, v28
	v_readfirstlane_b32 s12, v27
	s_mov_b32 s14, exec_lo
	s_wait_loadcnt 0x1
	s_wait_alu 0xf1ff
	v_and_b32_e32 v30, s13, v30
	v_and_b32_e32 v29, s12, v29
	s_delay_alu instid0(VALU_DEP_2) | instskip(NEXT) | instid1(VALU_DEP_2)
	v_mul_lo_u32 v6, 24, v30
	v_mul_lo_u32 v27, 0, v29
	v_mul_hi_u32 v28, 24, v29
	v_mul_lo_u32 v35, 24, v29
	s_delay_alu instid0(VALU_DEP_3) | instskip(SKIP_1) | instid1(VALU_DEP_2)
	v_add_nc_u32_e32 v6, v6, v27
	s_wait_loadcnt 0x0
	v_add_co_u32 v27, vcc_lo, v22, v35
	s_delay_alu instid0(VALU_DEP_2) | instskip(SKIP_1) | instid1(VALU_DEP_1)
	v_add_nc_u32_e32 v6, v6, v28
	s_wait_alu 0xfffd
	v_add_co_ci_u32_e64 v28, null, v23, v6, vcc_lo
	s_and_saveexec_b32 s15, s3
	s_cbranch_execz .LBB6_502
; %bb.501:                              ;   in Loop: Header=BB6_445 Depth=1
	s_wait_alu 0xfffe
	v_mov_b32_e32 v6, s14
	global_store_b128 v[27:28], v[6:9], off offset:8
.LBB6_502:                              ;   in Loop: Header=BB6_445 Depth=1
	s_wait_alu 0xfffe
	s_or_b32 exec_lo, exec_lo, s15
	v_cmp_lt_u64_e64 vcc_lo, s[6:7], 57
	v_lshlrev_b64_e32 v[29:30], 12, v[29:30]
	v_and_b32_e32 v2, 0xffffff1f, v2
	s_lshl_b32 s14, s10, 2
	s_wait_alu 0xfffe
	s_add_co_i32 s14, s14, 28
	s_wait_alu 0xfffd
	v_cndmask_b32_e32 v6, 0, v34, vcc_lo
	v_add_co_u32 v24, vcc_lo, v24, v29
	s_wait_alu 0xfffd
	v_add_co_ci_u32_e64 v25, null, v25, v30, vcc_lo
	s_delay_alu instid0(VALU_DEP_3) | instskip(NEXT) | instid1(VALU_DEP_2)
	v_or_b32_e32 v2, v2, v6
	v_readfirstlane_b32 s15, v25
	s_wait_alu 0xfffe
	s_delay_alu instid0(VALU_DEP_2)
	v_and_or_b32 v2, 0x1e0, s14, v2
	v_readfirstlane_b32 s14, v24
	s_clause 0x3
	global_store_b128 v32, v[2:5], s[14:15]
	global_store_b128 v32, v[10:13], s[14:15] offset:16
	global_store_b128 v32, v[14:17], s[14:15] offset:32
	;; [unrolled: 1-line block ×3, first 2 shown]
	s_and_saveexec_b32 s14, s3
	s_cbranch_execz .LBB6_510
; %bb.503:                              ;   in Loop: Header=BB6_445 Depth=1
	s_clause 0x1
	global_load_b64 v[14:15], v7, s[4:5] offset:32 scope:SCOPE_SYS
	global_load_b64 v[2:3], v7, s[4:5] offset:40
	s_mov_b32 s15, exec_lo
	v_dual_mov_b32 v12, s12 :: v_dual_mov_b32 v13, s13
	s_wait_loadcnt 0x0
	v_and_b32_e32 v2, s12, v2
	v_and_b32_e32 v3, s13, v3
	s_delay_alu instid0(VALU_DEP_2) | instskip(NEXT) | instid1(VALU_DEP_2)
	v_mul_lo_u32 v4, 0, v2
	v_mul_lo_u32 v3, 24, v3
	v_mul_hi_u32 v5, 24, v2
	v_mul_lo_u32 v2, 24, v2
	s_delay_alu instid0(VALU_DEP_3) | instskip(NEXT) | instid1(VALU_DEP_2)
	v_add_nc_u32_e32 v3, v3, v4
	v_add_co_u32 v10, vcc_lo, v22, v2
	s_delay_alu instid0(VALU_DEP_2) | instskip(SKIP_1) | instid1(VALU_DEP_1)
	v_add_nc_u32_e32 v3, v3, v5
	s_wait_alu 0xfffd
	v_add_co_ci_u32_e64 v11, null, v23, v3, vcc_lo
	global_store_b64 v[10:11], v[14:15], off
	global_wb scope:SCOPE_SYS
	s_wait_storecnt 0x0
	global_atomic_cmpswap_b64 v[4:5], v7, v[12:15], s[4:5] offset:32 th:TH_ATOMIC_RETURN scope:SCOPE_SYS
	s_wait_loadcnt 0x0
	v_cmpx_ne_u64_e64 v[4:5], v[14:15]
	s_cbranch_execz .LBB6_506
; %bb.504:                              ;   in Loop: Header=BB6_445 Depth=1
	s_mov_b32 s16, 0
.LBB6_505:                              ;   Parent Loop BB6_445 Depth=1
                                        ; =>  This Inner Loop Header: Depth=2
	v_dual_mov_b32 v2, s12 :: v_dual_mov_b32 v3, s13
	s_sleep 1
	global_store_b64 v[10:11], v[4:5], off
	global_wb scope:SCOPE_SYS
	s_wait_storecnt 0x0
	global_atomic_cmpswap_b64 v[2:3], v7, v[2:5], s[4:5] offset:32 th:TH_ATOMIC_RETURN scope:SCOPE_SYS
	s_wait_loadcnt 0x0
	v_cmp_eq_u64_e32 vcc_lo, v[2:3], v[4:5]
	v_dual_mov_b32 v5, v3 :: v_dual_mov_b32 v4, v2
	s_wait_alu 0xfffe
	s_or_b32 s16, vcc_lo, s16
	s_wait_alu 0xfffe
	s_and_not1_b32 exec_lo, exec_lo, s16
	s_cbranch_execnz .LBB6_505
.LBB6_506:                              ;   in Loop: Header=BB6_445 Depth=1
	s_wait_alu 0xfffe
	s_or_b32 exec_lo, exec_lo, s15
	global_load_b64 v[2:3], v7, s[4:5] offset:16
	s_mov_b32 s16, exec_lo
	s_mov_b32 s15, exec_lo
	s_wait_alu 0xfffe
	v_mbcnt_lo_u32_b32 v4, s16, 0
	s_delay_alu instid0(VALU_DEP_1)
	v_cmpx_eq_u32_e32 0, v4
	s_cbranch_execz .LBB6_508
; %bb.507:                              ;   in Loop: Header=BB6_445 Depth=1
	s_bcnt1_i32_b32 s16, s16
	s_wait_alu 0xfffe
	v_mov_b32_e32 v6, s16
	global_wb scope:SCOPE_SYS
	s_wait_loadcnt 0x0
	s_wait_storecnt 0x0
	global_atomic_add_u64 v[2:3], v[6:7], off offset:8 scope:SCOPE_SYS
.LBB6_508:                              ;   in Loop: Header=BB6_445 Depth=1
	s_or_b32 exec_lo, exec_lo, s15
	s_wait_loadcnt 0x0
	global_load_b64 v[4:5], v[2:3], off offset:16
	s_wait_loadcnt 0x0
	v_cmp_eq_u64_e32 vcc_lo, 0, v[4:5]
	s_cbranch_vccnz .LBB6_510
; %bb.509:                              ;   in Loop: Header=BB6_445 Depth=1
	global_load_b32 v6, v[2:3], off offset:24
	s_wait_loadcnt 0x0
	v_readfirstlane_b32 s15, v6
	global_wb scope:SCOPE_SYS
	s_wait_storecnt 0x0
	global_store_b64 v[4:5], v[6:7], off scope:SCOPE_SYS
	s_and_b32 m0, s15, 0xffffff
	s_sendmsg sendmsg(MSG_INTERRUPT)
.LBB6_510:                              ;   in Loop: Header=BB6_445 Depth=1
	s_wait_alu 0xfffe
	s_or_b32 exec_lo, exec_lo, s14
	v_add_co_u32 v2, vcc_lo, v24, v32
	s_wait_alu 0xfffd
	v_add_co_ci_u32_e64 v3, null, 0, v25, vcc_lo
	s_branch .LBB6_514
.LBB6_511:                              ;   in Loop: Header=BB6_514 Depth=2
	s_wait_alu 0xfffe
	s_or_b32 exec_lo, exec_lo, s14
	s_delay_alu instid0(VALU_DEP_1)
	v_readfirstlane_b32 s14, v4
	s_cmp_eq_u32 s14, 0
	s_cbranch_scc1 .LBB6_513
; %bb.512:                              ;   in Loop: Header=BB6_514 Depth=2
	s_sleep 1
	s_cbranch_execnz .LBB6_514
	s_branch .LBB6_516
.LBB6_513:                              ;   in Loop: Header=BB6_445 Depth=1
	s_branch .LBB6_516
.LBB6_514:                              ;   Parent Loop BB6_445 Depth=1
                                        ; =>  This Inner Loop Header: Depth=2
	v_mov_b32_e32 v4, 1
	s_and_saveexec_b32 s14, s3
	s_cbranch_execz .LBB6_511
; %bb.515:                              ;   in Loop: Header=BB6_514 Depth=2
	global_load_b32 v4, v[27:28], off offset:20 scope:SCOPE_SYS
	s_wait_loadcnt 0x0
	global_inv scope:SCOPE_SYS
	v_and_b32_e32 v4, 1, v4
	s_branch .LBB6_511
.LBB6_516:                              ;   in Loop: Header=BB6_445 Depth=1
	global_load_b64 v[2:3], v[2:3], off
	s_and_saveexec_b32 s14, s3
	s_cbranch_execz .LBB6_444
; %bb.517:                              ;   in Loop: Header=BB6_445 Depth=1
	s_clause 0x2
	global_load_b64 v[4:5], v7, s[4:5] offset:40
	global_load_b64 v[14:15], v7, s[4:5] offset:24 scope:SCOPE_SYS
	global_load_b64 v[10:11], v7, s[4:5]
	s_wait_loadcnt 0x2
	v_readfirstlane_b32 s16, v4
	v_readfirstlane_b32 s17, v5
	s_add_nc_u64 s[18:19], s[16:17], 1
	s_wait_alu 0xfffe
	s_add_nc_u64 s[12:13], s[18:19], s[12:13]
	s_wait_alu 0xfffe
	s_cmp_eq_u64 s[12:13], 0
	s_cselect_b32 s13, s19, s13
	s_cselect_b32 s12, s18, s12
	s_wait_alu 0xfffe
	v_dual_mov_b32 v13, s13 :: v_dual_mov_b32 v12, s12
	s_and_b64 s[16:17], s[12:13], s[16:17]
	s_wait_alu 0xfffe
	s_mul_u64 s[16:17], s[16:17], 24
	s_wait_loadcnt 0x0
	s_wait_alu 0xfffe
	v_add_co_u32 v4, vcc_lo, v10, s16
	s_wait_alu 0xfffd
	v_add_co_ci_u32_e64 v5, null, s17, v11, vcc_lo
	global_store_b64 v[4:5], v[14:15], off
	global_wb scope:SCOPE_SYS
	s_wait_storecnt 0x0
	global_atomic_cmpswap_b64 v[12:13], v7, v[12:15], s[4:5] offset:24 th:TH_ATOMIC_RETURN scope:SCOPE_SYS
	s_wait_loadcnt 0x0
	v_cmp_ne_u64_e32 vcc_lo, v[12:13], v[14:15]
	s_and_b32 exec_lo, exec_lo, vcc_lo
	s_cbranch_execz .LBB6_444
; %bb.518:                              ;   in Loop: Header=BB6_445 Depth=1
	s_mov_b32 s3, 0
.LBB6_519:                              ;   Parent Loop BB6_445 Depth=1
                                        ; =>  This Inner Loop Header: Depth=2
	v_dual_mov_b32 v10, s12 :: v_dual_mov_b32 v11, s13
	s_sleep 1
	global_store_b64 v[4:5], v[12:13], off
	global_wb scope:SCOPE_SYS
	s_wait_storecnt 0x0
	global_atomic_cmpswap_b64 v[10:11], v7, v[10:13], s[4:5] offset:24 th:TH_ATOMIC_RETURN scope:SCOPE_SYS
	s_wait_loadcnt 0x0
	v_cmp_eq_u64_e32 vcc_lo, v[10:11], v[12:13]
	v_dual_mov_b32 v13, v11 :: v_dual_mov_b32 v12, v10
	s_wait_alu 0xfffe
	s_or_b32 s3, vcc_lo, s3
	s_wait_alu 0xfffe
	s_and_not1_b32 exec_lo, exec_lo, s3
	s_cbranch_execnz .LBB6_519
	s_branch .LBB6_444
.LBB6_520:
	s_branch .LBB6_549
.LBB6_521:
                                        ; implicit-def: $vgpr2_vgpr3
	s_cbranch_execz .LBB6_549
; %bb.522:
	v_readfirstlane_b32 s3, v33
	v_mov_b32_e32 v8, 0
	v_mov_b32_e32 v9, 0
	s_wait_alu 0xf1ff
	s_delay_alu instid0(VALU_DEP_3)
	v_cmp_eq_u32_e64 s3, s3, v33
	s_and_saveexec_b32 s6, s3
	s_cbranch_execz .LBB6_528
; %bb.523:
	s_wait_loadcnt 0x0
	v_mov_b32_e32 v2, 0
	s_mov_b32 s7, exec_lo
	global_load_b64 v[5:6], v2, s[4:5] offset:24 scope:SCOPE_SYS
	s_wait_loadcnt 0x0
	global_inv scope:SCOPE_SYS
	s_clause 0x1
	global_load_b64 v[3:4], v2, s[4:5] offset:40
	global_load_b64 v[7:8], v2, s[4:5]
	s_wait_loadcnt 0x1
	v_and_b32_e32 v4, v4, v6
	v_and_b32_e32 v3, v3, v5
	s_delay_alu instid0(VALU_DEP_2) | instskip(NEXT) | instid1(VALU_DEP_2)
	v_mul_lo_u32 v4, 24, v4
	v_mul_lo_u32 v9, 0, v3
	v_mul_hi_u32 v10, 24, v3
	v_mul_lo_u32 v3, 24, v3
	s_delay_alu instid0(VALU_DEP_3) | instskip(SKIP_1) | instid1(VALU_DEP_2)
	v_add_nc_u32_e32 v4, v4, v9
	s_wait_loadcnt 0x0
	v_add_co_u32 v3, vcc_lo, v7, v3
	s_delay_alu instid0(VALU_DEP_2) | instskip(SKIP_1) | instid1(VALU_DEP_1)
	v_add_nc_u32_e32 v4, v4, v10
	s_wait_alu 0xfffd
	v_add_co_ci_u32_e64 v4, null, v8, v4, vcc_lo
	global_load_b64 v[3:4], v[3:4], off scope:SCOPE_SYS
	s_wait_loadcnt 0x0
	global_atomic_cmpswap_b64 v[8:9], v2, v[3:6], s[4:5] offset:24 th:TH_ATOMIC_RETURN scope:SCOPE_SYS
	s_wait_loadcnt 0x0
	global_inv scope:SCOPE_SYS
	v_cmpx_ne_u64_e64 v[8:9], v[5:6]
	s_cbranch_execz .LBB6_527
; %bb.524:
	s_mov_b32 s8, 0
.LBB6_525:                              ; =>This Inner Loop Header: Depth=1
	s_sleep 1
	s_clause 0x1
	global_load_b64 v[3:4], v2, s[4:5] offset:40
	global_load_b64 v[10:11], v2, s[4:5]
	v_dual_mov_b32 v5, v8 :: v_dual_mov_b32 v6, v9
	s_wait_loadcnt 0x1
	s_delay_alu instid0(VALU_DEP_1) | instskip(NEXT) | instid1(VALU_DEP_2)
	v_and_b32_e32 v3, v3, v5
	v_and_b32_e32 v4, v4, v6
	s_wait_loadcnt 0x0
	s_delay_alu instid0(VALU_DEP_2) | instskip(NEXT) | instid1(VALU_DEP_1)
	v_mad_co_u64_u32 v[7:8], null, v3, 24, v[10:11]
	v_mov_b32_e32 v3, v8
	s_delay_alu instid0(VALU_DEP_1) | instskip(NEXT) | instid1(VALU_DEP_1)
	v_mad_co_u64_u32 v[3:4], null, v4, 24, v[3:4]
	v_mov_b32_e32 v8, v3
	global_load_b64 v[3:4], v[7:8], off scope:SCOPE_SYS
	s_wait_loadcnt 0x0
	global_atomic_cmpswap_b64 v[8:9], v2, v[3:6], s[4:5] offset:24 th:TH_ATOMIC_RETURN scope:SCOPE_SYS
	s_wait_loadcnt 0x0
	global_inv scope:SCOPE_SYS
	v_cmp_eq_u64_e32 vcc_lo, v[8:9], v[5:6]
	s_wait_alu 0xfffe
	s_or_b32 s8, vcc_lo, s8
	s_wait_alu 0xfffe
	s_and_not1_b32 exec_lo, exec_lo, s8
	s_cbranch_execnz .LBB6_525
; %bb.526:
	s_or_b32 exec_lo, exec_lo, s8
.LBB6_527:
	s_wait_alu 0xfffe
	s_or_b32 exec_lo, exec_lo, s7
.LBB6_528:
	s_wait_alu 0xfffe
	s_or_b32 exec_lo, exec_lo, s6
	v_readfirstlane_b32 s7, v9
	s_wait_loadcnt 0x0
	v_mov_b32_e32 v2, 0
	v_readfirstlane_b32 s6, v8
	s_mov_b32 s8, exec_lo
	s_clause 0x1
	global_load_b64 v[10:11], v2, s[4:5] offset:40
	global_load_b128 v[4:7], v2, s[4:5]
	s_wait_loadcnt 0x1
	s_wait_alu 0xf1ff
	v_and_b32_e32 v11, s7, v11
	v_and_b32_e32 v10, s6, v10
	s_delay_alu instid0(VALU_DEP_2) | instskip(NEXT) | instid1(VALU_DEP_2)
	v_mul_lo_u32 v3, 24, v11
	v_mul_lo_u32 v8, 0, v10
	v_mul_hi_u32 v9, 24, v10
	v_mul_lo_u32 v12, 24, v10
	s_delay_alu instid0(VALU_DEP_3) | instskip(SKIP_1) | instid1(VALU_DEP_2)
	v_add_nc_u32_e32 v3, v3, v8
	s_wait_loadcnt 0x0
	v_add_co_u32 v8, vcc_lo, v4, v12
	s_delay_alu instid0(VALU_DEP_2) | instskip(SKIP_1) | instid1(VALU_DEP_1)
	v_add_nc_u32_e32 v3, v3, v9
	s_wait_alu 0xfffd
	v_add_co_ci_u32_e64 v9, null, v5, v3, vcc_lo
	s_and_saveexec_b32 s9, s3
	s_cbranch_execz .LBB6_530
; %bb.529:
	s_wait_alu 0xfffe
	v_dual_mov_b32 v12, s8 :: v_dual_mov_b32 v13, v2
	v_dual_mov_b32 v14, 2 :: v_dual_mov_b32 v15, 1
	global_store_b128 v[8:9], v[12:15], off offset:8
.LBB6_530:
	s_wait_alu 0xfffe
	s_or_b32 exec_lo, exec_lo, s9
	v_lshlrev_b64_e32 v[10:11], 12, v[10:11]
	s_mov_b32 s8, 0
	v_and_or_b32 v0, 0xffffff1f, v0, 32
	s_wait_alu 0xfffe
	s_mov_b32 s11, s8
	s_mov_b32 s9, s8
	;; [unrolled: 1-line block ×3, first 2 shown]
	v_add_co_u32 v6, vcc_lo, v6, v10
	s_wait_alu 0xfffd
	v_add_co_ci_u32_e64 v7, null, v7, v11, vcc_lo
	v_mov_b32_e32 v3, v2
	s_delay_alu instid0(VALU_DEP_3) | instskip(SKIP_1) | instid1(VALU_DEP_4)
	v_readfirstlane_b32 s12, v6
	v_add_co_u32 v6, vcc_lo, v6, v32
	v_readfirstlane_b32 s13, v7
	s_wait_alu 0xfffe
	v_dual_mov_b32 v13, s11 :: v_dual_mov_b32 v10, s8
	s_wait_alu 0xfffd
	v_add_co_ci_u32_e64 v7, null, 0, v7, vcc_lo
	v_dual_mov_b32 v12, s10 :: v_dual_mov_b32 v11, s9
	s_clause 0x3
	global_store_b128 v32, v[0:3], s[12:13]
	global_store_b128 v32, v[10:13], s[12:13] offset:16
	global_store_b128 v32, v[10:13], s[12:13] offset:32
	;; [unrolled: 1-line block ×3, first 2 shown]
	s_and_saveexec_b32 s8, s3
	s_cbranch_execz .LBB6_538
; %bb.531:
	v_mov_b32_e32 v10, 0
	s_mov_b32 s9, exec_lo
	s_clause 0x1
	global_load_b64 v[13:14], v10, s[4:5] offset:32 scope:SCOPE_SYS
	global_load_b64 v[0:1], v10, s[4:5] offset:40
	v_dual_mov_b32 v11, s6 :: v_dual_mov_b32 v12, s7
	s_wait_loadcnt 0x0
	v_and_b32_e32 v1, s7, v1
	v_and_b32_e32 v0, s6, v0
	s_delay_alu instid0(VALU_DEP_2) | instskip(NEXT) | instid1(VALU_DEP_2)
	v_mul_lo_u32 v1, 24, v1
	v_mul_lo_u32 v2, 0, v0
	v_mul_hi_u32 v3, 24, v0
	v_mul_lo_u32 v0, 24, v0
	s_delay_alu instid0(VALU_DEP_3) | instskip(NEXT) | instid1(VALU_DEP_2)
	v_add_nc_u32_e32 v1, v1, v2
	v_add_co_u32 v4, vcc_lo, v4, v0
	s_delay_alu instid0(VALU_DEP_2) | instskip(SKIP_1) | instid1(VALU_DEP_1)
	v_add_nc_u32_e32 v1, v1, v3
	s_wait_alu 0xfffd
	v_add_co_ci_u32_e64 v5, null, v5, v1, vcc_lo
	global_store_b64 v[4:5], v[13:14], off
	global_wb scope:SCOPE_SYS
	s_wait_storecnt 0x0
	global_atomic_cmpswap_b64 v[2:3], v10, v[11:14], s[4:5] offset:32 th:TH_ATOMIC_RETURN scope:SCOPE_SYS
	s_wait_loadcnt 0x0
	v_cmpx_ne_u64_e64 v[2:3], v[13:14]
	s_cbranch_execz .LBB6_534
; %bb.532:
	s_mov_b32 s10, 0
.LBB6_533:                              ; =>This Inner Loop Header: Depth=1
	v_dual_mov_b32 v0, s6 :: v_dual_mov_b32 v1, s7
	s_sleep 1
	global_store_b64 v[4:5], v[2:3], off
	global_wb scope:SCOPE_SYS
	s_wait_storecnt 0x0
	global_atomic_cmpswap_b64 v[0:1], v10, v[0:3], s[4:5] offset:32 th:TH_ATOMIC_RETURN scope:SCOPE_SYS
	s_wait_loadcnt 0x0
	v_cmp_eq_u64_e32 vcc_lo, v[0:1], v[2:3]
	v_dual_mov_b32 v3, v1 :: v_dual_mov_b32 v2, v0
	s_wait_alu 0xfffe
	s_or_b32 s10, vcc_lo, s10
	s_wait_alu 0xfffe
	s_and_not1_b32 exec_lo, exec_lo, s10
	s_cbranch_execnz .LBB6_533
.LBB6_534:
	s_wait_alu 0xfffe
	s_or_b32 exec_lo, exec_lo, s9
	v_mov_b32_e32 v3, 0
	s_mov_b32 s10, exec_lo
	s_mov_b32 s9, exec_lo
	s_wait_alu 0xfffe
	v_mbcnt_lo_u32_b32 v2, s10, 0
	global_load_b64 v[0:1], v3, s[4:5] offset:16
	v_cmpx_eq_u32_e32 0, v2
	s_cbranch_execz .LBB6_536
; %bb.535:
	s_bcnt1_i32_b32 s10, s10
	s_wait_alu 0xfffe
	v_mov_b32_e32 v2, s10
	global_wb scope:SCOPE_SYS
	s_wait_loadcnt 0x0
	s_wait_storecnt 0x0
	global_atomic_add_u64 v[0:1], v[2:3], off offset:8 scope:SCOPE_SYS
.LBB6_536:
	s_or_b32 exec_lo, exec_lo, s9
	s_wait_loadcnt 0x0
	global_load_b64 v[2:3], v[0:1], off offset:16
	s_wait_loadcnt 0x0
	v_cmp_eq_u64_e32 vcc_lo, 0, v[2:3]
	s_cbranch_vccnz .LBB6_538
; %bb.537:
	global_load_b32 v0, v[0:1], off offset:24
	v_mov_b32_e32 v1, 0
	s_wait_loadcnt 0x0
	v_readfirstlane_b32 s9, v0
	global_wb scope:SCOPE_SYS
	s_wait_storecnt 0x0
	global_store_b64 v[2:3], v[0:1], off scope:SCOPE_SYS
	s_and_b32 m0, s9, 0xffffff
	s_sendmsg sendmsg(MSG_INTERRUPT)
.LBB6_538:
	s_wait_alu 0xfffe
	s_or_b32 exec_lo, exec_lo, s8
	s_branch .LBB6_542
.LBB6_539:                              ;   in Loop: Header=BB6_542 Depth=1
	s_wait_alu 0xfffe
	s_or_b32 exec_lo, exec_lo, s8
	s_delay_alu instid0(VALU_DEP_1)
	v_readfirstlane_b32 s8, v0
	s_cmp_eq_u32 s8, 0
	s_cbranch_scc1 .LBB6_541
; %bb.540:                              ;   in Loop: Header=BB6_542 Depth=1
	s_sleep 1
	s_cbranch_execnz .LBB6_542
	s_branch .LBB6_544
.LBB6_541:
	s_branch .LBB6_544
.LBB6_542:                              ; =>This Inner Loop Header: Depth=1
	v_mov_b32_e32 v0, 1
	s_and_saveexec_b32 s8, s3
	s_cbranch_execz .LBB6_539
; %bb.543:                              ;   in Loop: Header=BB6_542 Depth=1
	global_load_b32 v0, v[8:9], off offset:20 scope:SCOPE_SYS
	s_wait_loadcnt 0x0
	global_inv scope:SCOPE_SYS
	v_and_b32_e32 v0, 1, v0
	s_branch .LBB6_539
.LBB6_544:
	global_load_b64 v[2:3], v[6:7], off
	s_and_saveexec_b32 s8, s3
	s_cbranch_execz .LBB6_548
; %bb.545:
	v_mov_b32_e32 v8, 0
	s_clause 0x2
	global_load_b64 v[0:1], v8, s[4:5] offset:40
	global_load_b64 v[11:12], v8, s[4:5] offset:24 scope:SCOPE_SYS
	global_load_b64 v[4:5], v8, s[4:5]
	s_wait_loadcnt 0x2
	v_readfirstlane_b32 s10, v0
	v_readfirstlane_b32 s11, v1
	s_add_nc_u64 s[12:13], s[10:11], 1
	s_wait_alu 0xfffe
	s_add_nc_u64 s[6:7], s[12:13], s[6:7]
	s_wait_alu 0xfffe
	s_cmp_eq_u64 s[6:7], 0
	s_cselect_b32 s7, s13, s7
	s_cselect_b32 s6, s12, s6
	s_wait_alu 0xfffe
	v_mov_b32_e32 v10, s7
	s_and_b64 s[10:11], s[6:7], s[10:11]
	v_mov_b32_e32 v9, s6
	s_wait_alu 0xfffe
	s_mul_u64 s[10:11], s[10:11], 24
	s_wait_loadcnt 0x0
	s_wait_alu 0xfffe
	v_add_co_u32 v0, vcc_lo, v4, s10
	s_wait_alu 0xfffd
	v_add_co_ci_u32_e64 v1, null, s11, v5, vcc_lo
	global_store_b64 v[0:1], v[11:12], off
	global_wb scope:SCOPE_SYS
	s_wait_storecnt 0x0
	global_atomic_cmpswap_b64 v[6:7], v8, v[9:12], s[4:5] offset:24 th:TH_ATOMIC_RETURN scope:SCOPE_SYS
	s_wait_loadcnt 0x0
	v_cmp_ne_u64_e32 vcc_lo, v[6:7], v[11:12]
	s_and_b32 exec_lo, exec_lo, vcc_lo
	s_cbranch_execz .LBB6_548
; %bb.546:
	s_mov_b32 s3, 0
.LBB6_547:                              ; =>This Inner Loop Header: Depth=1
	v_dual_mov_b32 v4, s6 :: v_dual_mov_b32 v5, s7
	s_sleep 1
	global_store_b64 v[0:1], v[6:7], off
	global_wb scope:SCOPE_SYS
	s_wait_storecnt 0x0
	global_atomic_cmpswap_b64 v[4:5], v8, v[4:7], s[4:5] offset:24 th:TH_ATOMIC_RETURN scope:SCOPE_SYS
	s_wait_loadcnt 0x0
	v_cmp_eq_u64_e32 vcc_lo, v[4:5], v[6:7]
	v_dual_mov_b32 v7, v5 :: v_dual_mov_b32 v6, v4
	s_wait_alu 0xfffe
	s_or_b32 s3, vcc_lo, s3
	s_wait_alu 0xfffe
	s_and_not1_b32 exec_lo, exec_lo, s3
	s_cbranch_execnz .LBB6_547
.LBB6_548:
	s_wait_alu 0xfffe
	s_or_b32 exec_lo, exec_lo, s8
.LBB6_549:
	v_readfirstlane_b32 s3, v33
	s_wait_loadcnt 0x0
	v_mov_b32_e32 v0, 0
	v_mov_b32_e32 v1, 0
	s_wait_alu 0xf1ff
	v_cmp_eq_u32_e64 s3, s3, v33
	s_and_saveexec_b32 s6, s3
	s_cbranch_execz .LBB6_555
; %bb.550:
	v_mov_b32_e32 v4, 0
	s_mov_b32 s7, exec_lo
	global_load_b64 v[7:8], v4, s[4:5] offset:24 scope:SCOPE_SYS
	s_wait_loadcnt 0x0
	global_inv scope:SCOPE_SYS
	s_clause 0x1
	global_load_b64 v[0:1], v4, s[4:5] offset:40
	global_load_b64 v[5:6], v4, s[4:5]
	s_wait_loadcnt 0x1
	v_and_b32_e32 v1, v1, v8
	v_and_b32_e32 v0, v0, v7
	s_delay_alu instid0(VALU_DEP_2) | instskip(NEXT) | instid1(VALU_DEP_2)
	v_mul_lo_u32 v1, 24, v1
	v_mul_lo_u32 v9, 0, v0
	v_mul_hi_u32 v10, 24, v0
	v_mul_lo_u32 v0, 24, v0
	s_delay_alu instid0(VALU_DEP_3) | instskip(SKIP_1) | instid1(VALU_DEP_2)
	v_add_nc_u32_e32 v1, v1, v9
	s_wait_loadcnt 0x0
	v_add_co_u32 v0, vcc_lo, v5, v0
	s_delay_alu instid0(VALU_DEP_2) | instskip(SKIP_1) | instid1(VALU_DEP_1)
	v_add_nc_u32_e32 v1, v1, v10
	s_wait_alu 0xfffd
	v_add_co_ci_u32_e64 v1, null, v6, v1, vcc_lo
	global_load_b64 v[5:6], v[0:1], off scope:SCOPE_SYS
	s_wait_loadcnt 0x0
	global_atomic_cmpswap_b64 v[0:1], v4, v[5:8], s[4:5] offset:24 th:TH_ATOMIC_RETURN scope:SCOPE_SYS
	s_wait_loadcnt 0x0
	global_inv scope:SCOPE_SYS
	v_cmpx_ne_u64_e64 v[0:1], v[7:8]
	s_cbranch_execz .LBB6_554
; %bb.551:
	s_mov_b32 s8, 0
.LBB6_552:                              ; =>This Inner Loop Header: Depth=1
	s_sleep 1
	s_clause 0x1
	global_load_b64 v[5:6], v4, s[4:5] offset:40
	global_load_b64 v[9:10], v4, s[4:5]
	v_dual_mov_b32 v8, v1 :: v_dual_mov_b32 v7, v0
	s_wait_loadcnt 0x1
	s_delay_alu instid0(VALU_DEP_1) | instskip(NEXT) | instid1(VALU_DEP_2)
	v_and_b32_e32 v0, v5, v7
	v_and_b32_e32 v5, v6, v8
	s_wait_loadcnt 0x0
	s_delay_alu instid0(VALU_DEP_2) | instskip(NEXT) | instid1(VALU_DEP_1)
	v_mad_co_u64_u32 v[0:1], null, v0, 24, v[9:10]
	v_mad_co_u64_u32 v[5:6], null, v5, 24, v[1:2]
	s_delay_alu instid0(VALU_DEP_1)
	v_mov_b32_e32 v1, v5
	global_load_b64 v[5:6], v[0:1], off scope:SCOPE_SYS
	s_wait_loadcnt 0x0
	global_atomic_cmpswap_b64 v[0:1], v4, v[5:8], s[4:5] offset:24 th:TH_ATOMIC_RETURN scope:SCOPE_SYS
	s_wait_loadcnt 0x0
	global_inv scope:SCOPE_SYS
	v_cmp_eq_u64_e32 vcc_lo, v[0:1], v[7:8]
	s_wait_alu 0xfffe
	s_or_b32 s8, vcc_lo, s8
	s_wait_alu 0xfffe
	s_and_not1_b32 exec_lo, exec_lo, s8
	s_cbranch_execnz .LBB6_552
; %bb.553:
	s_or_b32 exec_lo, exec_lo, s8
.LBB6_554:
	s_wait_alu 0xfffe
	s_or_b32 exec_lo, exec_lo, s7
.LBB6_555:
	s_wait_alu 0xfffe
	s_or_b32 exec_lo, exec_lo, s6
	v_readfirstlane_b32 s6, v0
	v_mov_b32_e32 v5, 0
	v_readfirstlane_b32 s7, v1
	s_mov_b32 s8, exec_lo
	s_clause 0x1
	global_load_b64 v[10:11], v5, s[4:5] offset:40
	global_load_b128 v[6:9], v5, s[4:5]
	s_wait_loadcnt 0x1
	s_wait_alu 0xf1ff
	v_and_b32_e32 v1, s7, v11
	v_and_b32_e32 v0, s6, v10
	s_delay_alu instid0(VALU_DEP_2) | instskip(NEXT) | instid1(VALU_DEP_2)
	v_mul_lo_u32 v4, 24, v1
	v_mul_lo_u32 v10, 0, v0
	v_mul_hi_u32 v11, 24, v0
	v_mul_lo_u32 v12, 24, v0
	s_delay_alu instid0(VALU_DEP_3) | instskip(SKIP_1) | instid1(VALU_DEP_2)
	v_add_nc_u32_e32 v4, v4, v10
	s_wait_loadcnt 0x0
	v_add_co_u32 v10, vcc_lo, v6, v12
	s_delay_alu instid0(VALU_DEP_2) | instskip(SKIP_1) | instid1(VALU_DEP_1)
	v_add_nc_u32_e32 v4, v4, v11
	s_wait_alu 0xfffd
	v_add_co_ci_u32_e64 v11, null, v7, v4, vcc_lo
	s_and_saveexec_b32 s9, s3
	s_cbranch_execz .LBB6_557
; %bb.556:
	s_wait_alu 0xfffe
	v_dual_mov_b32 v4, s8 :: v_dual_mov_b32 v15, 1
	v_dual_mov_b32 v14, 2 :: v_dual_mov_b32 v13, v5
	s_delay_alu instid0(VALU_DEP_2)
	v_mov_b32_e32 v12, v4
	global_store_b128 v[10:11], v[12:15], off offset:8
.LBB6_557:
	s_wait_alu 0xfffe
	s_or_b32 exec_lo, exec_lo, s9
	v_lshlrev_b64_e32 v[0:1], 12, v[0:1]
	s_mov_b32 s8, 0
	v_and_or_b32 v2, 0xffffff1f, v2, 32
	s_wait_alu 0xfffe
	s_mov_b32 s11, s8
	s_mov_b32 s9, s8
	;; [unrolled: 1-line block ×3, first 2 shown]
	v_add_co_u32 v0, vcc_lo, v8, v0
	s_wait_alu 0xfffd
	v_add_co_ci_u32_e64 v1, null, v9, v1, vcc_lo
	s_wait_alu 0xfffe
	v_dual_mov_b32 v4, 31 :: v_dual_mov_b32 v15, s11
	v_add_co_u32 v8, vcc_lo, v0, v32
	v_readfirstlane_b32 s12, v0
	v_readfirstlane_b32 s13, v1
	s_wait_alu 0xfffd
	v_add_co_ci_u32_e64 v9, null, 0, v1, vcc_lo
	v_dual_mov_b32 v14, s10 :: v_dual_mov_b32 v13, s9
	v_mov_b32_e32 v12, s8
	s_clause 0x3
	global_store_b128 v32, v[2:5], s[12:13]
	global_store_b128 v32, v[12:15], s[12:13] offset:16
	global_store_b128 v32, v[12:15], s[12:13] offset:32
	;; [unrolled: 1-line block ×3, first 2 shown]
	s_and_saveexec_b32 s8, s3
	s_cbranch_execz .LBB6_565
; %bb.558:
	v_mov_b32_e32 v12, 0
	s_mov_b32 s9, exec_lo
	s_clause 0x1
	global_load_b64 v[15:16], v12, s[4:5] offset:32 scope:SCOPE_SYS
	global_load_b64 v[0:1], v12, s[4:5] offset:40
	v_dual_mov_b32 v13, s6 :: v_dual_mov_b32 v14, s7
	s_wait_loadcnt 0x0
	v_and_b32_e32 v1, s7, v1
	v_and_b32_e32 v0, s6, v0
	s_delay_alu instid0(VALU_DEP_2) | instskip(NEXT) | instid1(VALU_DEP_2)
	v_mul_lo_u32 v1, 24, v1
	v_mul_lo_u32 v2, 0, v0
	v_mul_hi_u32 v3, 24, v0
	v_mul_lo_u32 v0, 24, v0
	s_delay_alu instid0(VALU_DEP_3) | instskip(NEXT) | instid1(VALU_DEP_2)
	v_add_nc_u32_e32 v1, v1, v2
	v_add_co_u32 v4, vcc_lo, v6, v0
	s_delay_alu instid0(VALU_DEP_2) | instskip(SKIP_1) | instid1(VALU_DEP_1)
	v_add_nc_u32_e32 v1, v1, v3
	s_wait_alu 0xfffd
	v_add_co_ci_u32_e64 v5, null, v7, v1, vcc_lo
	global_store_b64 v[4:5], v[15:16], off
	global_wb scope:SCOPE_SYS
	s_wait_storecnt 0x0
	global_atomic_cmpswap_b64 v[2:3], v12, v[13:16], s[4:5] offset:32 th:TH_ATOMIC_RETURN scope:SCOPE_SYS
	s_wait_loadcnt 0x0
	v_cmpx_ne_u64_e64 v[2:3], v[15:16]
	s_cbranch_execz .LBB6_561
; %bb.559:
	s_mov_b32 s10, 0
.LBB6_560:                              ; =>This Inner Loop Header: Depth=1
	v_dual_mov_b32 v0, s6 :: v_dual_mov_b32 v1, s7
	s_sleep 1
	global_store_b64 v[4:5], v[2:3], off
	global_wb scope:SCOPE_SYS
	s_wait_storecnt 0x0
	global_atomic_cmpswap_b64 v[0:1], v12, v[0:3], s[4:5] offset:32 th:TH_ATOMIC_RETURN scope:SCOPE_SYS
	s_wait_loadcnt 0x0
	v_cmp_eq_u64_e32 vcc_lo, v[0:1], v[2:3]
	v_dual_mov_b32 v3, v1 :: v_dual_mov_b32 v2, v0
	s_wait_alu 0xfffe
	s_or_b32 s10, vcc_lo, s10
	s_wait_alu 0xfffe
	s_and_not1_b32 exec_lo, exec_lo, s10
	s_cbranch_execnz .LBB6_560
.LBB6_561:
	s_wait_alu 0xfffe
	s_or_b32 exec_lo, exec_lo, s9
	v_mov_b32_e32 v3, 0
	s_mov_b32 s10, exec_lo
	s_mov_b32 s9, exec_lo
	s_wait_alu 0xfffe
	v_mbcnt_lo_u32_b32 v2, s10, 0
	global_load_b64 v[0:1], v3, s[4:5] offset:16
	v_cmpx_eq_u32_e32 0, v2
	s_cbranch_execz .LBB6_563
; %bb.562:
	s_bcnt1_i32_b32 s10, s10
	s_wait_alu 0xfffe
	v_mov_b32_e32 v2, s10
	global_wb scope:SCOPE_SYS
	s_wait_loadcnt 0x0
	s_wait_storecnt 0x0
	global_atomic_add_u64 v[0:1], v[2:3], off offset:8 scope:SCOPE_SYS
.LBB6_563:
	s_or_b32 exec_lo, exec_lo, s9
	s_wait_loadcnt 0x0
	global_load_b64 v[2:3], v[0:1], off offset:16
	s_wait_loadcnt 0x0
	v_cmp_eq_u64_e32 vcc_lo, 0, v[2:3]
	s_cbranch_vccnz .LBB6_565
; %bb.564:
	global_load_b32 v0, v[0:1], off offset:24
	v_mov_b32_e32 v1, 0
	s_wait_loadcnt 0x0
	v_readfirstlane_b32 s9, v0
	global_wb scope:SCOPE_SYS
	s_wait_storecnt 0x0
	global_store_b64 v[2:3], v[0:1], off scope:SCOPE_SYS
	s_and_b32 m0, s9, 0xffffff
	s_sendmsg sendmsg(MSG_INTERRUPT)
.LBB6_565:
	s_wait_alu 0xfffe
	s_or_b32 exec_lo, exec_lo, s8
	s_branch .LBB6_569
.LBB6_566:                              ;   in Loop: Header=BB6_569 Depth=1
	s_wait_alu 0xfffe
	s_or_b32 exec_lo, exec_lo, s8
	s_delay_alu instid0(VALU_DEP_1)
	v_readfirstlane_b32 s8, v0
	s_cmp_eq_u32 s8, 0
	s_cbranch_scc1 .LBB6_568
; %bb.567:                              ;   in Loop: Header=BB6_569 Depth=1
	s_sleep 1
	s_cbranch_execnz .LBB6_569
	s_branch .LBB6_571
.LBB6_568:
	s_branch .LBB6_571
.LBB6_569:                              ; =>This Inner Loop Header: Depth=1
	v_mov_b32_e32 v0, 1
	s_and_saveexec_b32 s8, s3
	s_cbranch_execz .LBB6_566
; %bb.570:                              ;   in Loop: Header=BB6_569 Depth=1
	global_load_b32 v0, v[10:11], off offset:20 scope:SCOPE_SYS
	s_wait_loadcnt 0x0
	global_inv scope:SCOPE_SYS
	v_and_b32_e32 v0, 1, v0
	s_branch .LBB6_566
.LBB6_571:
	global_load_b64 v[0:1], v[8:9], off
	s_and_saveexec_b32 s8, s3
	s_cbranch_execz .LBB6_575
; %bb.572:
	v_mov_b32_e32 v8, 0
	s_clause 0x2
	global_load_b64 v[2:3], v8, s[4:5] offset:40
	global_load_b64 v[11:12], v8, s[4:5] offset:24 scope:SCOPE_SYS
	global_load_b64 v[4:5], v8, s[4:5]
	s_wait_loadcnt 0x2
	v_readfirstlane_b32 s10, v2
	v_readfirstlane_b32 s11, v3
	s_add_nc_u64 s[12:13], s[10:11], 1
	s_wait_alu 0xfffe
	s_add_nc_u64 s[6:7], s[12:13], s[6:7]
	s_wait_alu 0xfffe
	s_cmp_eq_u64 s[6:7], 0
	s_cselect_b32 s7, s13, s7
	s_cselect_b32 s6, s12, s6
	s_wait_alu 0xfffe
	v_mov_b32_e32 v10, s7
	s_and_b64 s[10:11], s[6:7], s[10:11]
	v_mov_b32_e32 v9, s6
	s_wait_alu 0xfffe
	s_mul_u64 s[10:11], s[10:11], 24
	s_wait_loadcnt 0x0
	s_wait_alu 0xfffe
	v_add_co_u32 v6, vcc_lo, v4, s10
	s_wait_alu 0xfffd
	v_add_co_ci_u32_e64 v7, null, s11, v5, vcc_lo
	global_store_b64 v[6:7], v[11:12], off
	global_wb scope:SCOPE_SYS
	s_wait_storecnt 0x0
	global_atomic_cmpswap_b64 v[4:5], v8, v[9:12], s[4:5] offset:24 th:TH_ATOMIC_RETURN scope:SCOPE_SYS
	s_wait_loadcnt 0x0
	v_cmp_ne_u64_e32 vcc_lo, v[4:5], v[11:12]
	s_and_b32 exec_lo, exec_lo, vcc_lo
	s_cbranch_execz .LBB6_575
; %bb.573:
	s_mov_b32 s3, 0
.LBB6_574:                              ; =>This Inner Loop Header: Depth=1
	v_dual_mov_b32 v2, s6 :: v_dual_mov_b32 v3, s7
	s_sleep 1
	global_store_b64 v[6:7], v[4:5], off
	global_wb scope:SCOPE_SYS
	s_wait_storecnt 0x0
	global_atomic_cmpswap_b64 v[2:3], v8, v[2:5], s[4:5] offset:24 th:TH_ATOMIC_RETURN scope:SCOPE_SYS
	s_wait_loadcnt 0x0
	v_cmp_eq_u64_e32 vcc_lo, v[2:3], v[4:5]
	v_dual_mov_b32 v5, v3 :: v_dual_mov_b32 v4, v2
	s_wait_alu 0xfffe
	s_or_b32 s3, vcc_lo, s3
	s_wait_alu 0xfffe
	s_and_not1_b32 exec_lo, exec_lo, s3
	s_cbranch_execnz .LBB6_574
.LBB6_575:
	s_wait_alu 0xfffe
	s_or_b32 exec_lo, exec_lo, s8
	v_readfirstlane_b32 s3, v33
	v_mov_b32_e32 v8, 0
	v_mov_b32_e32 v9, 0
	s_wait_alu 0xf1ff
	s_delay_alu instid0(VALU_DEP_3)
	v_cmp_eq_u32_e64 s3, s3, v33
	s_and_saveexec_b32 s6, s3
	s_cbranch_execz .LBB6_581
; %bb.576:
	v_mov_b32_e32 v2, 0
	s_mov_b32 s7, exec_lo
	global_load_b64 v[5:6], v2, s[4:5] offset:24 scope:SCOPE_SYS
	s_wait_loadcnt 0x0
	global_inv scope:SCOPE_SYS
	s_clause 0x1
	global_load_b64 v[3:4], v2, s[4:5] offset:40
	global_load_b64 v[7:8], v2, s[4:5]
	s_wait_loadcnt 0x1
	v_and_b32_e32 v4, v4, v6
	v_and_b32_e32 v3, v3, v5
	s_delay_alu instid0(VALU_DEP_2) | instskip(NEXT) | instid1(VALU_DEP_2)
	v_mul_lo_u32 v4, 24, v4
	v_mul_lo_u32 v9, 0, v3
	v_mul_hi_u32 v10, 24, v3
	v_mul_lo_u32 v3, 24, v3
	s_delay_alu instid0(VALU_DEP_3) | instskip(SKIP_1) | instid1(VALU_DEP_2)
	v_add_nc_u32_e32 v4, v4, v9
	s_wait_loadcnt 0x0
	v_add_co_u32 v3, vcc_lo, v7, v3
	s_delay_alu instid0(VALU_DEP_2) | instskip(SKIP_1) | instid1(VALU_DEP_1)
	v_add_nc_u32_e32 v4, v4, v10
	s_wait_alu 0xfffd
	v_add_co_ci_u32_e64 v4, null, v8, v4, vcc_lo
	global_load_b64 v[3:4], v[3:4], off scope:SCOPE_SYS
	s_wait_loadcnt 0x0
	global_atomic_cmpswap_b64 v[8:9], v2, v[3:6], s[4:5] offset:24 th:TH_ATOMIC_RETURN scope:SCOPE_SYS
	s_wait_loadcnt 0x0
	global_inv scope:SCOPE_SYS
	v_cmpx_ne_u64_e64 v[8:9], v[5:6]
	s_cbranch_execz .LBB6_580
; %bb.577:
	s_mov_b32 s8, 0
.LBB6_578:                              ; =>This Inner Loop Header: Depth=1
	s_sleep 1
	s_clause 0x1
	global_load_b64 v[3:4], v2, s[4:5] offset:40
	global_load_b64 v[10:11], v2, s[4:5]
	v_dual_mov_b32 v5, v8 :: v_dual_mov_b32 v6, v9
	s_wait_loadcnt 0x1
	s_delay_alu instid0(VALU_DEP_1) | instskip(NEXT) | instid1(VALU_DEP_2)
	v_and_b32_e32 v3, v3, v5
	v_and_b32_e32 v4, v4, v6
	s_wait_loadcnt 0x0
	s_delay_alu instid0(VALU_DEP_2) | instskip(NEXT) | instid1(VALU_DEP_1)
	v_mad_co_u64_u32 v[7:8], null, v3, 24, v[10:11]
	v_mov_b32_e32 v3, v8
	s_delay_alu instid0(VALU_DEP_1) | instskip(NEXT) | instid1(VALU_DEP_1)
	v_mad_co_u64_u32 v[3:4], null, v4, 24, v[3:4]
	v_mov_b32_e32 v8, v3
	global_load_b64 v[3:4], v[7:8], off scope:SCOPE_SYS
	s_wait_loadcnt 0x0
	global_atomic_cmpswap_b64 v[8:9], v2, v[3:6], s[4:5] offset:24 th:TH_ATOMIC_RETURN scope:SCOPE_SYS
	s_wait_loadcnt 0x0
	global_inv scope:SCOPE_SYS
	v_cmp_eq_u64_e32 vcc_lo, v[8:9], v[5:6]
	s_wait_alu 0xfffe
	s_or_b32 s8, vcc_lo, s8
	s_wait_alu 0xfffe
	s_and_not1_b32 exec_lo, exec_lo, s8
	s_cbranch_execnz .LBB6_578
; %bb.579:
	s_or_b32 exec_lo, exec_lo, s8
.LBB6_580:
	s_wait_alu 0xfffe
	s_or_b32 exec_lo, exec_lo, s7
.LBB6_581:
	s_wait_alu 0xfffe
	s_or_b32 exec_lo, exec_lo, s6
	v_readfirstlane_b32 s6, v8
	v_mov_b32_e32 v3, 0
	v_readfirstlane_b32 s7, v9
	s_mov_b32 s8, exec_lo
	s_clause 0x1
	global_load_b64 v[10:11], v3, s[4:5] offset:40
	global_load_b128 v[4:7], v3, s[4:5]
	s_wait_loadcnt 0x1
	s_wait_alu 0xf1ff
	v_and_b32_e32 v11, s7, v11
	v_and_b32_e32 v10, s6, v10
	s_delay_alu instid0(VALU_DEP_2) | instskip(NEXT) | instid1(VALU_DEP_2)
	v_mul_lo_u32 v2, 24, v11
	v_mul_lo_u32 v8, 0, v10
	v_mul_hi_u32 v9, 24, v10
	v_mul_lo_u32 v12, 24, v10
	s_delay_alu instid0(VALU_DEP_3) | instskip(SKIP_1) | instid1(VALU_DEP_2)
	v_add_nc_u32_e32 v2, v2, v8
	s_wait_loadcnt 0x0
	v_add_co_u32 v8, vcc_lo, v4, v12
	s_delay_alu instid0(VALU_DEP_2) | instskip(SKIP_1) | instid1(VALU_DEP_1)
	v_add_nc_u32_e32 v2, v2, v9
	s_wait_alu 0xfffd
	v_add_co_ci_u32_e64 v9, null, v5, v2, vcc_lo
	s_and_saveexec_b32 s9, s3
	s_cbranch_execz .LBB6_583
; %bb.582:
	s_wait_alu 0xfffe
	v_dual_mov_b32 v2, s8 :: v_dual_mov_b32 v15, 1
	v_dual_mov_b32 v14, 2 :: v_dual_mov_b32 v13, v3
	s_delay_alu instid0(VALU_DEP_2)
	v_mov_b32_e32 v12, v2
	global_store_b128 v[8:9], v[12:15], off offset:8
.LBB6_583:
	s_wait_alu 0xfffe
	s_or_b32 exec_lo, exec_lo, s9
	v_lshlrev_b64_e32 v[10:11], 12, v[10:11]
	s_mov_b32 s8, 0
	v_cndmask_b32_e64 v2, -1, v31, s2
	s_wait_alu 0xfffe
	s_mov_b32 s11, s8
	s_mov_b32 s9, s8
	;; [unrolled: 1-line block ×3, first 2 shown]
	v_add_co_u32 v6, vcc_lo, v6, v10
	s_wait_alu 0xfffd
	v_add_co_ci_u32_e64 v7, null, v7, v11, vcc_lo
	v_and_or_b32 v0, 0xffffff1f, v0, 32
	s_delay_alu instid0(VALU_DEP_3) | instskip(SKIP_1) | instid1(VALU_DEP_4)
	v_add_co_u32 v10, vcc_lo, v6, v32
	v_readfirstlane_b32 s12, v6
	v_readfirstlane_b32 s13, v7
	s_wait_alu 0xfffe
	v_dual_mov_b32 v15, s11 :: v_dual_mov_b32 v14, s10
	s_wait_alu 0xfffd
	v_add_co_ci_u32_e64 v11, null, 0, v7, vcc_lo
	v_dual_mov_b32 v13, s9 :: v_dual_mov_b32 v12, s8
	s_clause 0x3
	global_store_b128 v32, v[0:3], s[12:13]
	global_store_b128 v32, v[12:15], s[12:13] offset:16
	global_store_b128 v32, v[12:15], s[12:13] offset:32
	;; [unrolled: 1-line block ×3, first 2 shown]
	s_and_saveexec_b32 s2, s3
	s_cbranch_execz .LBB6_591
; %bb.584:
	v_mov_b32_e32 v7, 0
	v_mov_b32_e32 v13, s7
	s_mov_b32 s8, exec_lo
	s_clause 0x1
	global_load_b64 v[14:15], v7, s[4:5] offset:32 scope:SCOPE_SYS
	global_load_b64 v[0:1], v7, s[4:5] offset:40
	s_wait_loadcnt 0x0
	v_dual_mov_b32 v12, s6 :: v_dual_and_b32 v1, s7, v1
	v_and_b32_e32 v0, s6, v0
	s_delay_alu instid0(VALU_DEP_2) | instskip(NEXT) | instid1(VALU_DEP_2)
	v_mul_lo_u32 v1, 24, v1
	v_mul_lo_u32 v3, 0, v0
	v_mul_hi_u32 v6, 24, v0
	v_mul_lo_u32 v0, 24, v0
	s_delay_alu instid0(VALU_DEP_3) | instskip(NEXT) | instid1(VALU_DEP_2)
	v_add_nc_u32_e32 v1, v1, v3
	v_add_co_u32 v0, vcc_lo, v4, v0
	s_delay_alu instid0(VALU_DEP_2) | instskip(SKIP_1) | instid1(VALU_DEP_1)
	v_add_nc_u32_e32 v1, v1, v6
	s_wait_alu 0xfffd
	v_add_co_ci_u32_e64 v1, null, v5, v1, vcc_lo
	global_store_b64 v[0:1], v[14:15], off
	global_wb scope:SCOPE_SYS
	s_wait_storecnt 0x0
	global_atomic_cmpswap_b64 v[5:6], v7, v[12:15], s[4:5] offset:32 th:TH_ATOMIC_RETURN scope:SCOPE_SYS
	s_wait_loadcnt 0x0
	v_cmpx_ne_u64_e64 v[5:6], v[14:15]
	s_cbranch_execz .LBB6_587
; %bb.585:
	s_mov_b32 s9, 0
.LBB6_586:                              ; =>This Inner Loop Header: Depth=1
	v_dual_mov_b32 v3, s6 :: v_dual_mov_b32 v4, s7
	s_sleep 1
	global_store_b64 v[0:1], v[5:6], off
	global_wb scope:SCOPE_SYS
	s_wait_storecnt 0x0
	global_atomic_cmpswap_b64 v[3:4], v7, v[3:6], s[4:5] offset:32 th:TH_ATOMIC_RETURN scope:SCOPE_SYS
	s_wait_loadcnt 0x0
	v_cmp_eq_u64_e32 vcc_lo, v[3:4], v[5:6]
	v_dual_mov_b32 v6, v4 :: v_dual_mov_b32 v5, v3
	s_wait_alu 0xfffe
	s_or_b32 s9, vcc_lo, s9
	s_wait_alu 0xfffe
	s_and_not1_b32 exec_lo, exec_lo, s9
	s_cbranch_execnz .LBB6_586
.LBB6_587:
	s_wait_alu 0xfffe
	s_or_b32 exec_lo, exec_lo, s8
	v_mov_b32_e32 v4, 0
	s_mov_b32 s9, exec_lo
	s_mov_b32 s8, exec_lo
	s_wait_alu 0xfffe
	v_mbcnt_lo_u32_b32 v3, s9, 0
	global_load_b64 v[0:1], v4, s[4:5] offset:16
	v_cmpx_eq_u32_e32 0, v3
	s_cbranch_execz .LBB6_589
; %bb.588:
	s_bcnt1_i32_b32 s9, s9
	s_wait_alu 0xfffe
	v_mov_b32_e32 v3, s9
	global_wb scope:SCOPE_SYS
	s_wait_loadcnt 0x0
	s_wait_storecnt 0x0
	global_atomic_add_u64 v[0:1], v[3:4], off offset:8 scope:SCOPE_SYS
.LBB6_589:
	s_or_b32 exec_lo, exec_lo, s8
	s_wait_loadcnt 0x0
	global_load_b64 v[3:4], v[0:1], off offset:16
	s_wait_loadcnt 0x0
	v_cmp_eq_u64_e32 vcc_lo, 0, v[3:4]
	s_cbranch_vccnz .LBB6_591
; %bb.590:
	global_load_b32 v0, v[0:1], off offset:24
	v_mov_b32_e32 v1, 0
	s_wait_loadcnt 0x0
	v_readfirstlane_b32 s8, v0
	global_wb scope:SCOPE_SYS
	s_wait_storecnt 0x0
	global_store_b64 v[3:4], v[0:1], off scope:SCOPE_SYS
	s_and_b32 m0, s8, 0xffffff
	s_sendmsg sendmsg(MSG_INTERRUPT)
.LBB6_591:
	s_wait_alu 0xfffe
	s_or_b32 exec_lo, exec_lo, s2
	s_branch .LBB6_595
.LBB6_592:                              ;   in Loop: Header=BB6_595 Depth=1
	s_wait_alu 0xfffe
	s_or_b32 exec_lo, exec_lo, s2
	s_delay_alu instid0(VALU_DEP_1)
	v_readfirstlane_b32 s2, v0
	s_cmp_eq_u32 s2, 0
	s_cbranch_scc1 .LBB6_594
; %bb.593:                              ;   in Loop: Header=BB6_595 Depth=1
	s_sleep 1
	s_cbranch_execnz .LBB6_595
	s_branch .LBB6_597
.LBB6_594:
	s_branch .LBB6_597
.LBB6_595:                              ; =>This Inner Loop Header: Depth=1
	v_mov_b32_e32 v0, 1
	s_and_saveexec_b32 s2, s3
	s_cbranch_execz .LBB6_592
; %bb.596:                              ;   in Loop: Header=BB6_595 Depth=1
	global_load_b32 v0, v[8:9], off offset:20 scope:SCOPE_SYS
	s_wait_loadcnt 0x0
	global_inv scope:SCOPE_SYS
	v_and_b32_e32 v0, 1, v0
	s_branch .LBB6_592
.LBB6_597:
	global_load_b64 v[3:4], v[10:11], off
	s_and_saveexec_b32 s8, s3
	s_cbranch_execz .LBB6_601
; %bb.598:
	v_mov_b32_e32 v9, 0
	s_clause 0x2
	global_load_b64 v[0:1], v9, s[4:5] offset:40
	global_load_b64 v[12:13], v9, s[4:5] offset:24 scope:SCOPE_SYS
	global_load_b64 v[5:6], v9, s[4:5]
	s_wait_loadcnt 0x2
	v_readfirstlane_b32 s10, v0
	v_readfirstlane_b32 s11, v1
	s_add_nc_u64 s[2:3], s[10:11], 1
	s_wait_alu 0xfffe
	s_add_nc_u64 s[6:7], s[2:3], s[6:7]
	s_wait_alu 0xfffe
	s_cmp_eq_u64 s[6:7], 0
	s_cselect_b32 s3, s3, s7
	s_cselect_b32 s2, s2, s6
	s_wait_alu 0xfffe
	v_mov_b32_e32 v11, s3
	s_and_b64 s[6:7], s[2:3], s[10:11]
	v_mov_b32_e32 v10, s2
	s_wait_alu 0xfffe
	s_mul_u64 s[6:7], s[6:7], 24
	s_wait_loadcnt 0x0
	s_wait_alu 0xfffe
	v_add_co_u32 v0, vcc_lo, v5, s6
	s_wait_alu 0xfffd
	v_add_co_ci_u32_e64 v1, null, s7, v6, vcc_lo
	global_store_b64 v[0:1], v[12:13], off
	global_wb scope:SCOPE_SYS
	s_wait_storecnt 0x0
	global_atomic_cmpswap_b64 v[7:8], v9, v[10:13], s[4:5] offset:24 th:TH_ATOMIC_RETURN scope:SCOPE_SYS
	s_wait_loadcnt 0x0
	v_cmp_ne_u64_e32 vcc_lo, v[7:8], v[12:13]
	s_and_b32 exec_lo, exec_lo, vcc_lo
	s_cbranch_execz .LBB6_601
; %bb.599:
	s_mov_b32 s6, 0
.LBB6_600:                              ; =>This Inner Loop Header: Depth=1
	v_dual_mov_b32 v5, s2 :: v_dual_mov_b32 v6, s3
	s_sleep 1
	global_store_b64 v[0:1], v[7:8], off
	global_wb scope:SCOPE_SYS
	s_wait_storecnt 0x0
	global_atomic_cmpswap_b64 v[5:6], v9, v[5:8], s[4:5] offset:24 th:TH_ATOMIC_RETURN scope:SCOPE_SYS
	s_wait_loadcnt 0x0
	v_cmp_eq_u64_e32 vcc_lo, v[5:6], v[7:8]
	v_dual_mov_b32 v8, v6 :: v_dual_mov_b32 v7, v5
	s_wait_alu 0xfffe
	s_or_b32 s6, vcc_lo, s6
	s_wait_alu 0xfffe
	s_and_not1_b32 exec_lo, exec_lo, s6
	s_cbranch_execnz .LBB6_600
.LBB6_601:
	s_wait_alu 0xfffe
	s_or_b32 exec_lo, exec_lo, s8
	v_readfirstlane_b32 s2, v33
	v_mov_b32_e32 v0, 0
	v_mov_b32_e32 v1, 0
	s_wait_alu 0xf1ff
	s_delay_alu instid0(VALU_DEP_3)
	v_cmp_eq_u32_e64 s2, s2, v33
	s_and_saveexec_b32 s3, s2
	s_cbranch_execz .LBB6_607
; %bb.602:
	v_mov_b32_e32 v5, 0
	s_mov_b32 s6, exec_lo
	global_load_b64 v[8:9], v5, s[4:5] offset:24 scope:SCOPE_SYS
	s_wait_loadcnt 0x0
	global_inv scope:SCOPE_SYS
	s_clause 0x1
	global_load_b64 v[0:1], v5, s[4:5] offset:40
	global_load_b64 v[6:7], v5, s[4:5]
	s_wait_loadcnt 0x1
	v_and_b32_e32 v1, v1, v9
	v_and_b32_e32 v0, v0, v8
	s_delay_alu instid0(VALU_DEP_2) | instskip(NEXT) | instid1(VALU_DEP_2)
	v_mul_lo_u32 v1, 24, v1
	v_mul_lo_u32 v10, 0, v0
	v_mul_hi_u32 v11, 24, v0
	v_mul_lo_u32 v0, 24, v0
	s_delay_alu instid0(VALU_DEP_3) | instskip(SKIP_1) | instid1(VALU_DEP_2)
	v_add_nc_u32_e32 v1, v1, v10
	s_wait_loadcnt 0x0
	v_add_co_u32 v0, vcc_lo, v6, v0
	s_delay_alu instid0(VALU_DEP_2) | instskip(SKIP_1) | instid1(VALU_DEP_1)
	v_add_nc_u32_e32 v1, v1, v11
	s_wait_alu 0xfffd
	v_add_co_ci_u32_e64 v1, null, v7, v1, vcc_lo
	global_load_b64 v[6:7], v[0:1], off scope:SCOPE_SYS
	s_wait_loadcnt 0x0
	global_atomic_cmpswap_b64 v[0:1], v5, v[6:9], s[4:5] offset:24 th:TH_ATOMIC_RETURN scope:SCOPE_SYS
	s_wait_loadcnt 0x0
	global_inv scope:SCOPE_SYS
	v_cmpx_ne_u64_e64 v[0:1], v[8:9]
	s_cbranch_execz .LBB6_606
; %bb.603:
	s_mov_b32 s7, 0
.LBB6_604:                              ; =>This Inner Loop Header: Depth=1
	s_sleep 1
	s_clause 0x1
	global_load_b64 v[6:7], v5, s[4:5] offset:40
	global_load_b64 v[10:11], v5, s[4:5]
	v_dual_mov_b32 v9, v1 :: v_dual_mov_b32 v8, v0
	s_wait_loadcnt 0x1
	s_delay_alu instid0(VALU_DEP_1) | instskip(NEXT) | instid1(VALU_DEP_2)
	v_and_b32_e32 v0, v6, v8
	v_and_b32_e32 v6, v7, v9
	s_wait_loadcnt 0x0
	s_delay_alu instid0(VALU_DEP_2) | instskip(NEXT) | instid1(VALU_DEP_1)
	v_mad_co_u64_u32 v[0:1], null, v0, 24, v[10:11]
	v_mad_co_u64_u32 v[6:7], null, v6, 24, v[1:2]
	s_delay_alu instid0(VALU_DEP_1)
	v_mov_b32_e32 v1, v6
	global_load_b64 v[6:7], v[0:1], off scope:SCOPE_SYS
	s_wait_loadcnt 0x0
	global_atomic_cmpswap_b64 v[0:1], v5, v[6:9], s[4:5] offset:24 th:TH_ATOMIC_RETURN scope:SCOPE_SYS
	s_wait_loadcnt 0x0
	global_inv scope:SCOPE_SYS
	v_cmp_eq_u64_e32 vcc_lo, v[0:1], v[8:9]
	s_wait_alu 0xfffe
	s_or_b32 s7, vcc_lo, s7
	s_wait_alu 0xfffe
	s_and_not1_b32 exec_lo, exec_lo, s7
	s_cbranch_execnz .LBB6_604
; %bb.605:
	s_or_b32 exec_lo, exec_lo, s7
.LBB6_606:
	s_wait_alu 0xfffe
	s_or_b32 exec_lo, exec_lo, s6
.LBB6_607:
	s_wait_alu 0xfffe
	s_or_b32 exec_lo, exec_lo, s3
	v_readfirstlane_b32 s6, v0
	v_mov_b32_e32 v6, 0
	v_readfirstlane_b32 s7, v1
	s_mov_b32 s3, exec_lo
	s_clause 0x1
	global_load_b64 v[11:12], v6, s[4:5] offset:40
	global_load_b128 v[7:10], v6, s[4:5]
	s_wait_loadcnt 0x1
	s_wait_alu 0xf1ff
	v_and_b32_e32 v12, s7, v12
	v_and_b32_e32 v11, s6, v11
	s_delay_alu instid0(VALU_DEP_2) | instskip(NEXT) | instid1(VALU_DEP_2)
	v_mul_lo_u32 v0, 24, v12
	v_mul_lo_u32 v1, 0, v11
	v_mul_hi_u32 v5, 24, v11
	v_mul_lo_u32 v13, 24, v11
	s_delay_alu instid0(VALU_DEP_3) | instskip(NEXT) | instid1(VALU_DEP_1)
	v_add_nc_u32_e32 v0, v0, v1
	v_add_nc_u32_e32 v1, v0, v5
	s_wait_loadcnt 0x0
	s_delay_alu instid0(VALU_DEP_3) | instskip(SKIP_1) | instid1(VALU_DEP_2)
	v_add_co_u32 v0, vcc_lo, v7, v13
	s_wait_alu 0xfffd
	v_add_co_ci_u32_e64 v1, null, v8, v1, vcc_lo
	s_and_saveexec_b32 s8, s2
	s_cbranch_execz .LBB6_609
; %bb.608:
	s_wait_alu 0xfffe
	v_dual_mov_b32 v5, s3 :: v_dual_mov_b32 v16, 1
	v_dual_mov_b32 v15, 2 :: v_dual_mov_b32 v14, v6
	s_delay_alu instid0(VALU_DEP_2)
	v_mov_b32_e32 v13, v5
	global_store_b128 v[0:1], v[13:16], off offset:8
.LBB6_609:
	s_wait_alu 0xfffe
	s_or_b32 exec_lo, exec_lo, s8
	v_lshlrev_b64_e32 v[11:12], 12, v[11:12]
	s_mov_b32 s8, 0
	v_lshrrev_b32_e32 v5, 5, v26
	s_wait_alu 0xfffe
	s_mov_b32 s11, s8
	s_mov_b32 s9, s8
	s_mov_b32 s10, s8
	v_add_co_u32 v9, vcc_lo, v9, v11
	s_wait_alu 0xfffd
	v_add_co_ci_u32_e64 v11, null, v10, v12, vcc_lo
	v_and_or_b32 v3, 0xffffff1f, v3, 32
	s_delay_alu instid0(VALU_DEP_3) | instskip(SKIP_1) | instid1(VALU_DEP_4)
	v_add_co_u32 v10, vcc_lo, v9, v32
	v_readfirstlane_b32 s12, v9
	v_readfirstlane_b32 s13, v11
	s_wait_alu 0xfffe
	v_dual_mov_b32 v15, s11 :: v_dual_mov_b32 v14, s10
	s_wait_alu 0xfffd
	v_add_co_ci_u32_e64 v11, null, 0, v11, vcc_lo
	v_dual_mov_b32 v13, s9 :: v_dual_mov_b32 v12, s8
	s_clause 0x3
	global_store_b128 v32, v[3:6], s[12:13]
	global_store_b128 v32, v[12:15], s[12:13] offset:16
	global_store_b128 v32, v[12:15], s[12:13] offset:32
	;; [unrolled: 1-line block ×3, first 2 shown]
	s_and_saveexec_b32 s3, s2
	s_cbranch_execz .LBB6_617
; %bb.610:
	v_mov_b32_e32 v12, 0
	v_mov_b32_e32 v14, s7
	s_mov_b32 s8, exec_lo
	s_clause 0x1
	global_load_b64 v[15:16], v12, s[4:5] offset:32 scope:SCOPE_SYS
	global_load_b64 v[3:4], v12, s[4:5] offset:40
	s_wait_loadcnt 0x0
	v_dual_mov_b32 v13, s6 :: v_dual_and_b32 v4, s7, v4
	v_and_b32_e32 v3, s6, v3
	s_delay_alu instid0(VALU_DEP_2) | instskip(NEXT) | instid1(VALU_DEP_2)
	v_mul_lo_u32 v4, 24, v4
	v_mul_lo_u32 v6, 0, v3
	v_mul_hi_u32 v9, 24, v3
	v_mul_lo_u32 v3, 24, v3
	s_delay_alu instid0(VALU_DEP_3) | instskip(NEXT) | instid1(VALU_DEP_2)
	v_add_nc_u32_e32 v4, v4, v6
	v_add_co_u32 v3, vcc_lo, v7, v3
	s_delay_alu instid0(VALU_DEP_2) | instskip(SKIP_1) | instid1(VALU_DEP_1)
	v_add_nc_u32_e32 v4, v4, v9
	s_wait_alu 0xfffd
	v_add_co_ci_u32_e64 v4, null, v8, v4, vcc_lo
	global_store_b64 v[3:4], v[15:16], off
	global_wb scope:SCOPE_SYS
	s_wait_storecnt 0x0
	global_atomic_cmpswap_b64 v[8:9], v12, v[13:16], s[4:5] offset:32 th:TH_ATOMIC_RETURN scope:SCOPE_SYS
	s_wait_loadcnt 0x0
	v_cmpx_ne_u64_e64 v[8:9], v[15:16]
	s_cbranch_execz .LBB6_613
; %bb.611:
	s_mov_b32 s9, 0
.LBB6_612:                              ; =>This Inner Loop Header: Depth=1
	v_dual_mov_b32 v6, s6 :: v_dual_mov_b32 v7, s7
	s_sleep 1
	global_store_b64 v[3:4], v[8:9], off
	global_wb scope:SCOPE_SYS
	s_wait_storecnt 0x0
	global_atomic_cmpswap_b64 v[6:7], v12, v[6:9], s[4:5] offset:32 th:TH_ATOMIC_RETURN scope:SCOPE_SYS
	s_wait_loadcnt 0x0
	v_cmp_eq_u64_e32 vcc_lo, v[6:7], v[8:9]
	v_dual_mov_b32 v9, v7 :: v_dual_mov_b32 v8, v6
	s_wait_alu 0xfffe
	s_or_b32 s9, vcc_lo, s9
	s_wait_alu 0xfffe
	s_and_not1_b32 exec_lo, exec_lo, s9
	s_cbranch_execnz .LBB6_612
.LBB6_613:
	s_wait_alu 0xfffe
	s_or_b32 exec_lo, exec_lo, s8
	v_mov_b32_e32 v7, 0
	s_mov_b32 s9, exec_lo
	s_mov_b32 s8, exec_lo
	s_wait_alu 0xfffe
	v_mbcnt_lo_u32_b32 v6, s9, 0
	global_load_b64 v[3:4], v7, s[4:5] offset:16
	v_cmpx_eq_u32_e32 0, v6
	s_cbranch_execz .LBB6_615
; %bb.614:
	s_bcnt1_i32_b32 s9, s9
	s_wait_alu 0xfffe
	v_mov_b32_e32 v6, s9
	global_wb scope:SCOPE_SYS
	s_wait_loadcnt 0x0
	s_wait_storecnt 0x0
	global_atomic_add_u64 v[3:4], v[6:7], off offset:8 scope:SCOPE_SYS
.LBB6_615:
	s_or_b32 exec_lo, exec_lo, s8
	s_wait_loadcnt 0x0
	global_load_b64 v[6:7], v[3:4], off offset:16
	s_wait_loadcnt 0x0
	v_cmp_eq_u64_e32 vcc_lo, 0, v[6:7]
	s_cbranch_vccnz .LBB6_617
; %bb.616:
	global_load_b32 v3, v[3:4], off offset:24
	v_mov_b32_e32 v4, 0
	s_wait_loadcnt 0x0
	v_readfirstlane_b32 s8, v3
	global_wb scope:SCOPE_SYS
	s_wait_storecnt 0x0
	global_store_b64 v[6:7], v[3:4], off scope:SCOPE_SYS
	s_and_b32 m0, s8, 0xffffff
	s_sendmsg sendmsg(MSG_INTERRUPT)
.LBB6_617:
	s_wait_alu 0xfffe
	s_or_b32 exec_lo, exec_lo, s3
	s_branch .LBB6_621
.LBB6_618:                              ;   in Loop: Header=BB6_621 Depth=1
	s_wait_alu 0xfffe
	s_or_b32 exec_lo, exec_lo, s3
	s_delay_alu instid0(VALU_DEP_1)
	v_readfirstlane_b32 s3, v3
	s_cmp_eq_u32 s3, 0
	s_cbranch_scc1 .LBB6_620
; %bb.619:                              ;   in Loop: Header=BB6_621 Depth=1
	s_sleep 1
	s_cbranch_execnz .LBB6_621
	s_branch .LBB6_623
.LBB6_620:
	s_branch .LBB6_623
.LBB6_621:                              ; =>This Inner Loop Header: Depth=1
	v_mov_b32_e32 v3, 1
	s_and_saveexec_b32 s3, s2
	s_cbranch_execz .LBB6_618
; %bb.622:                              ;   in Loop: Header=BB6_621 Depth=1
	global_load_b32 v3, v[0:1], off offset:20 scope:SCOPE_SYS
	s_wait_loadcnt 0x0
	global_inv scope:SCOPE_SYS
	v_and_b32_e32 v3, 1, v3
	s_branch .LBB6_618
.LBB6_623:
	global_load_b64 v[6:7], v[10:11], off
	s_and_saveexec_b32 s8, s2
	s_cbranch_execz .LBB6_627
; %bb.624:
	v_mov_b32_e32 v3, 0
	s_clause 0x2
	global_load_b64 v[0:1], v3, s[4:5] offset:40
	global_load_b64 v[12:13], v3, s[4:5] offset:24 scope:SCOPE_SYS
	global_load_b64 v[8:9], v3, s[4:5]
	s_wait_loadcnt 0x2
	v_readfirstlane_b32 s10, v0
	v_readfirstlane_b32 s11, v1
	s_add_nc_u64 s[2:3], s[10:11], 1
	s_wait_alu 0xfffe
	s_add_nc_u64 s[6:7], s[2:3], s[6:7]
	s_wait_alu 0xfffe
	s_cmp_eq_u64 s[6:7], 0
	s_cselect_b32 s3, s3, s7
	s_cselect_b32 s2, s2, s6
	s_wait_alu 0xfffe
	v_mov_b32_e32 v11, s3
	s_and_b64 s[6:7], s[2:3], s[10:11]
	v_mov_b32_e32 v10, s2
	s_wait_alu 0xfffe
	s_mul_u64 s[6:7], s[6:7], 24
	s_wait_loadcnt 0x0
	s_wait_alu 0xfffe
	v_add_co_u32 v0, vcc_lo, v8, s6
	s_wait_alu 0xfffd
	v_add_co_ci_u32_e64 v1, null, s7, v9, vcc_lo
	global_store_b64 v[0:1], v[12:13], off
	global_wb scope:SCOPE_SYS
	s_wait_storecnt 0x0
	global_atomic_cmpswap_b64 v[10:11], v3, v[10:13], s[4:5] offset:24 th:TH_ATOMIC_RETURN scope:SCOPE_SYS
	s_wait_loadcnt 0x0
	v_cmp_ne_u64_e32 vcc_lo, v[10:11], v[12:13]
	s_and_b32 exec_lo, exec_lo, vcc_lo
	s_cbranch_execz .LBB6_627
; %bb.625:
	s_mov_b32 s6, 0
.LBB6_626:                              ; =>This Inner Loop Header: Depth=1
	v_dual_mov_b32 v8, s2 :: v_dual_mov_b32 v9, s3
	s_sleep 1
	global_store_b64 v[0:1], v[10:11], off
	global_wb scope:SCOPE_SYS
	s_wait_storecnt 0x0
	global_atomic_cmpswap_b64 v[8:9], v3, v[8:11], s[4:5] offset:24 th:TH_ATOMIC_RETURN scope:SCOPE_SYS
	s_wait_loadcnt 0x0
	v_cmp_eq_u64_e32 vcc_lo, v[8:9], v[10:11]
	v_dual_mov_b32 v11, v9 :: v_dual_mov_b32 v10, v8
	s_wait_alu 0xfffe
	s_or_b32 s6, vcc_lo, s6
	s_wait_alu 0xfffe
	s_and_not1_b32 exec_lo, exec_lo, s6
	s_cbranch_execnz .LBB6_626
.LBB6_627:
	s_wait_alu 0xfffe
	s_or_b32 exec_lo, exec_lo, s8
	v_readfirstlane_b32 s2, v33
	v_mov_b32_e32 v0, 0
	v_mov_b32_e32 v1, 0
	s_wait_alu 0xf1ff
	s_delay_alu instid0(VALU_DEP_3)
	v_cmp_eq_u32_e64 s2, s2, v33
	s_and_saveexec_b32 s3, s2
	s_cbranch_execz .LBB6_633
; %bb.628:
	v_mov_b32_e32 v3, 0
	s_mov_b32 s6, exec_lo
	global_load_b64 v[10:11], v3, s[4:5] offset:24 scope:SCOPE_SYS
	s_wait_loadcnt 0x0
	global_inv scope:SCOPE_SYS
	s_clause 0x1
	global_load_b64 v[0:1], v3, s[4:5] offset:40
	global_load_b64 v[8:9], v3, s[4:5]
	s_wait_loadcnt 0x1
	v_and_b32_e32 v1, v1, v11
	v_and_b32_e32 v0, v0, v10
	s_delay_alu instid0(VALU_DEP_2) | instskip(NEXT) | instid1(VALU_DEP_2)
	v_mul_lo_u32 v1, 24, v1
	v_mul_lo_u32 v4, 0, v0
	v_mul_hi_u32 v12, 24, v0
	v_mul_lo_u32 v0, 24, v0
	s_delay_alu instid0(VALU_DEP_3) | instskip(SKIP_1) | instid1(VALU_DEP_2)
	v_add_nc_u32_e32 v1, v1, v4
	s_wait_loadcnt 0x0
	v_add_co_u32 v0, vcc_lo, v8, v0
	s_delay_alu instid0(VALU_DEP_2) | instskip(SKIP_1) | instid1(VALU_DEP_1)
	v_add_nc_u32_e32 v1, v1, v12
	s_wait_alu 0xfffd
	v_add_co_ci_u32_e64 v1, null, v9, v1, vcc_lo
	global_load_b64 v[8:9], v[0:1], off scope:SCOPE_SYS
	s_wait_loadcnt 0x0
	global_atomic_cmpswap_b64 v[0:1], v3, v[8:11], s[4:5] offset:24 th:TH_ATOMIC_RETURN scope:SCOPE_SYS
	s_wait_loadcnt 0x0
	global_inv scope:SCOPE_SYS
	v_cmpx_ne_u64_e64 v[0:1], v[10:11]
	s_cbranch_execz .LBB6_632
; %bb.629:
	s_mov_b32 s7, 0
.LBB6_630:                              ; =>This Inner Loop Header: Depth=1
	s_sleep 1
	s_clause 0x1
	global_load_b64 v[8:9], v3, s[4:5] offset:40
	global_load_b64 v[12:13], v3, s[4:5]
	v_dual_mov_b32 v11, v1 :: v_dual_mov_b32 v10, v0
	s_wait_loadcnt 0x1
	s_delay_alu instid0(VALU_DEP_1) | instskip(NEXT) | instid1(VALU_DEP_2)
	v_and_b32_e32 v0, v8, v10
	v_and_b32_e32 v4, v9, v11
	s_wait_loadcnt 0x0
	s_delay_alu instid0(VALU_DEP_2) | instskip(NEXT) | instid1(VALU_DEP_1)
	v_mad_co_u64_u32 v[0:1], null, v0, 24, v[12:13]
	v_mad_co_u64_u32 v[8:9], null, v4, 24, v[1:2]
	s_delay_alu instid0(VALU_DEP_1)
	v_mov_b32_e32 v1, v8
	global_load_b64 v[8:9], v[0:1], off scope:SCOPE_SYS
	s_wait_loadcnt 0x0
	global_atomic_cmpswap_b64 v[0:1], v3, v[8:11], s[4:5] offset:24 th:TH_ATOMIC_RETURN scope:SCOPE_SYS
	s_wait_loadcnt 0x0
	global_inv scope:SCOPE_SYS
	v_cmp_eq_u64_e32 vcc_lo, v[0:1], v[10:11]
	s_wait_alu 0xfffe
	s_or_b32 s7, vcc_lo, s7
	s_wait_alu 0xfffe
	s_and_not1_b32 exec_lo, exec_lo, s7
	s_cbranch_execnz .LBB6_630
; %bb.631:
	s_or_b32 exec_lo, exec_lo, s7
.LBB6_632:
	s_wait_alu 0xfffe
	s_or_b32 exec_lo, exec_lo, s6
.LBB6_633:
	s_wait_alu 0xfffe
	s_or_b32 exec_lo, exec_lo, s3
	v_readfirstlane_b32 s7, v1
	v_mov_b32_e32 v9, 0
	v_readfirstlane_b32 s6, v0
	s_mov_b32 s3, exec_lo
	s_clause 0x1
	global_load_b64 v[3:4], v9, s[4:5] offset:40
	global_load_b128 v[10:13], v9, s[4:5]
	s_wait_loadcnt 0x1
	s_wait_alu 0xf1ff
	v_and_b32_e32 v4, s7, v4
	v_and_b32_e32 v3, s6, v3
	s_delay_alu instid0(VALU_DEP_2) | instskip(NEXT) | instid1(VALU_DEP_2)
	v_mul_lo_u32 v0, 24, v4
	v_mul_lo_u32 v1, 0, v3
	v_mul_hi_u32 v8, 24, v3
	v_mul_lo_u32 v14, 24, v3
	s_delay_alu instid0(VALU_DEP_3) | instskip(NEXT) | instid1(VALU_DEP_1)
	v_add_nc_u32_e32 v0, v0, v1
	v_add_nc_u32_e32 v1, v0, v8
	s_wait_loadcnt 0x0
	s_delay_alu instid0(VALU_DEP_3) | instskip(SKIP_1) | instid1(VALU_DEP_2)
	v_add_co_u32 v0, vcc_lo, v10, v14
	s_wait_alu 0xfffd
	v_add_co_ci_u32_e64 v1, null, v11, v1, vcc_lo
	s_and_saveexec_b32 s8, s2
	s_cbranch_execz .LBB6_635
; %bb.634:
	s_wait_alu 0xfffe
	v_dual_mov_b32 v8, s3 :: v_dual_mov_b32 v17, 1
	v_dual_mov_b32 v16, 2 :: v_dual_mov_b32 v15, v9
	s_delay_alu instid0(VALU_DEP_2)
	v_mov_b32_e32 v14, v8
	global_store_b128 v[0:1], v[14:17], off offset:8
.LBB6_635:
	s_wait_alu 0xfffe
	s_or_b32 exec_lo, exec_lo, s8
	v_lshlrev_b64_e32 v[3:4], 12, v[3:4]
	s_add_co_i32 s20, s20, 31
	s_mov_b32 s8, 0
	s_wait_alu 0xfffe
	s_lshr_b32 s3, s20, 5
	s_mov_b32 s11, s8
	s_mov_b32 s9, s8
	v_add_co_u32 v3, vcc_lo, v12, v3
	s_wait_alu 0xfffd
	v_add_co_ci_u32_e64 v4, null, v13, v4, vcc_lo
	s_mov_b32 s10, s8
	v_and_or_b32 v6, 0xffffff1d, v6, 34
	s_wait_alu 0xfffe
	v_dual_mov_b32 v8, s3 :: v_dual_mov_b32 v15, s11
	v_readfirstlane_b32 s12, v3
	v_readfirstlane_b32 s13, v4
	v_dual_mov_b32 v14, s10 :: v_dual_mov_b32 v13, s9
	v_mov_b32_e32 v12, s8
	s_clause 0x3
	global_store_b128 v32, v[6:9], s[12:13]
	global_store_b128 v32, v[12:15], s[12:13] offset:16
	global_store_b128 v32, v[12:15], s[12:13] offset:32
	;; [unrolled: 1-line block ×3, first 2 shown]
	s_and_saveexec_b32 s3, s2
	s_cbranch_execz .LBB6_643
; %bb.636:
	v_mov_b32_e32 v12, 0
	v_mov_b32_e32 v14, s7
	s_mov_b32 s8, exec_lo
	s_clause 0x1
	global_load_b64 v[15:16], v12, s[4:5] offset:32 scope:SCOPE_SYS
	global_load_b64 v[3:4], v12, s[4:5] offset:40
	s_wait_loadcnt 0x0
	v_dual_mov_b32 v13, s6 :: v_dual_and_b32 v4, s7, v4
	v_and_b32_e32 v3, s6, v3
	s_delay_alu instid0(VALU_DEP_2) | instskip(NEXT) | instid1(VALU_DEP_2)
	v_mul_lo_u32 v4, 24, v4
	v_mul_lo_u32 v6, 0, v3
	v_mul_hi_u32 v7, 24, v3
	v_mul_lo_u32 v3, 24, v3
	s_delay_alu instid0(VALU_DEP_3) | instskip(NEXT) | instid1(VALU_DEP_2)
	v_add_nc_u32_e32 v4, v4, v6
	v_add_co_u32 v3, vcc_lo, v10, v3
	s_delay_alu instid0(VALU_DEP_2) | instskip(SKIP_1) | instid1(VALU_DEP_1)
	v_add_nc_u32_e32 v4, v4, v7
	s_wait_alu 0xfffd
	v_add_co_ci_u32_e64 v4, null, v11, v4, vcc_lo
	global_store_b64 v[3:4], v[15:16], off
	global_wb scope:SCOPE_SYS
	s_wait_storecnt 0x0
	global_atomic_cmpswap_b64 v[8:9], v12, v[13:16], s[4:5] offset:32 th:TH_ATOMIC_RETURN scope:SCOPE_SYS
	s_wait_loadcnt 0x0
	v_cmpx_ne_u64_e64 v[8:9], v[15:16]
	s_cbranch_execz .LBB6_639
; %bb.637:
	s_mov_b32 s9, 0
.LBB6_638:                              ; =>This Inner Loop Header: Depth=1
	v_dual_mov_b32 v6, s6 :: v_dual_mov_b32 v7, s7
	s_sleep 1
	global_store_b64 v[3:4], v[8:9], off
	global_wb scope:SCOPE_SYS
	s_wait_storecnt 0x0
	global_atomic_cmpswap_b64 v[6:7], v12, v[6:9], s[4:5] offset:32 th:TH_ATOMIC_RETURN scope:SCOPE_SYS
	s_wait_loadcnt 0x0
	v_cmp_eq_u64_e32 vcc_lo, v[6:7], v[8:9]
	v_dual_mov_b32 v9, v7 :: v_dual_mov_b32 v8, v6
	s_wait_alu 0xfffe
	s_or_b32 s9, vcc_lo, s9
	s_wait_alu 0xfffe
	s_and_not1_b32 exec_lo, exec_lo, s9
	s_cbranch_execnz .LBB6_638
.LBB6_639:
	s_wait_alu 0xfffe
	s_or_b32 exec_lo, exec_lo, s8
	v_mov_b32_e32 v7, 0
	s_mov_b32 s9, exec_lo
	s_mov_b32 s8, exec_lo
	s_wait_alu 0xfffe
	v_mbcnt_lo_u32_b32 v6, s9, 0
	global_load_b64 v[3:4], v7, s[4:5] offset:16
	v_cmpx_eq_u32_e32 0, v6
	s_cbranch_execz .LBB6_641
; %bb.640:
	s_bcnt1_i32_b32 s9, s9
	s_wait_alu 0xfffe
	v_mov_b32_e32 v6, s9
	global_wb scope:SCOPE_SYS
	s_wait_loadcnt 0x0
	s_wait_storecnt 0x0
	global_atomic_add_u64 v[3:4], v[6:7], off offset:8 scope:SCOPE_SYS
.LBB6_641:
	s_or_b32 exec_lo, exec_lo, s8
	s_wait_loadcnt 0x0
	global_load_b64 v[6:7], v[3:4], off offset:16
	s_wait_loadcnt 0x0
	v_cmp_eq_u64_e32 vcc_lo, 0, v[6:7]
	s_cbranch_vccnz .LBB6_643
; %bb.642:
	global_load_b32 v3, v[3:4], off offset:24
	v_mov_b32_e32 v4, 0
	s_wait_loadcnt 0x0
	v_readfirstlane_b32 s8, v3
	global_wb scope:SCOPE_SYS
	s_wait_storecnt 0x0
	global_store_b64 v[6:7], v[3:4], off scope:SCOPE_SYS
	s_and_b32 m0, s8, 0xffffff
	s_sendmsg sendmsg(MSG_INTERRUPT)
.LBB6_643:
	s_wait_alu 0xfffe
	s_or_b32 exec_lo, exec_lo, s3
	s_branch .LBB6_647
.LBB6_644:                              ;   in Loop: Header=BB6_647 Depth=1
	s_wait_alu 0xfffe
	s_or_b32 exec_lo, exec_lo, s3
	s_delay_alu instid0(VALU_DEP_1)
	v_readfirstlane_b32 s3, v3
	s_cmp_eq_u32 s3, 0
	s_cbranch_scc1 .LBB6_646
; %bb.645:                              ;   in Loop: Header=BB6_647 Depth=1
	s_sleep 1
	s_cbranch_execnz .LBB6_647
	s_branch .LBB6_649
.LBB6_646:
	s_branch .LBB6_649
.LBB6_647:                              ; =>This Inner Loop Header: Depth=1
	v_mov_b32_e32 v3, 1
	s_and_saveexec_b32 s3, s2
	s_cbranch_execz .LBB6_644
; %bb.648:                              ;   in Loop: Header=BB6_647 Depth=1
	global_load_b32 v3, v[0:1], off offset:20 scope:SCOPE_SYS
	s_wait_loadcnt 0x0
	global_inv scope:SCOPE_SYS
	v_and_b32_e32 v3, 1, v3
	s_branch .LBB6_644
.LBB6_649:
	s_and_saveexec_b32 s8, s2
	s_cbranch_execz .LBB6_653
; %bb.650:
	v_mov_b32_e32 v3, 0
	s_clause 0x2
	global_load_b64 v[0:1], v3, s[4:5] offset:40
	global_load_b64 v[10:11], v3, s[4:5] offset:24 scope:SCOPE_SYS
	global_load_b64 v[6:7], v3, s[4:5]
	s_wait_loadcnt 0x2
	v_readfirstlane_b32 s10, v0
	v_readfirstlane_b32 s11, v1
	s_add_nc_u64 s[2:3], s[10:11], 1
	s_wait_alu 0xfffe
	s_add_nc_u64 s[6:7], s[2:3], s[6:7]
	s_wait_alu 0xfffe
	s_cmp_eq_u64 s[6:7], 0
	s_cselect_b32 s3, s3, s7
	s_cselect_b32 s2, s2, s6
	s_wait_alu 0xfffe
	v_mov_b32_e32 v9, s3
	s_and_b64 s[6:7], s[2:3], s[10:11]
	v_mov_b32_e32 v8, s2
	s_wait_alu 0xfffe
	s_mul_u64 s[6:7], s[6:7], 24
	s_wait_loadcnt 0x0
	s_wait_alu 0xfffe
	v_add_co_u32 v0, vcc_lo, v6, s6
	s_wait_alu 0xfffd
	v_add_co_ci_u32_e64 v1, null, s7, v7, vcc_lo
	global_store_b64 v[0:1], v[10:11], off
	global_wb scope:SCOPE_SYS
	s_wait_storecnt 0x0
	global_atomic_cmpswap_b64 v[8:9], v3, v[8:11], s[4:5] offset:24 th:TH_ATOMIC_RETURN scope:SCOPE_SYS
	s_wait_loadcnt 0x0
	v_cmp_ne_u64_e32 vcc_lo, v[8:9], v[10:11]
	s_and_b32 exec_lo, exec_lo, vcc_lo
	s_cbranch_execz .LBB6_653
; %bb.651:
	s_mov_b32 s6, 0
.LBB6_652:                              ; =>This Inner Loop Header: Depth=1
	v_dual_mov_b32 v6, s2 :: v_dual_mov_b32 v7, s3
	s_sleep 1
	global_store_b64 v[0:1], v[8:9], off
	global_wb scope:SCOPE_SYS
	s_wait_storecnt 0x0
	global_atomic_cmpswap_b64 v[6:7], v3, v[6:9], s[4:5] offset:24 th:TH_ATOMIC_RETURN scope:SCOPE_SYS
	s_wait_loadcnt 0x0
	v_cmp_eq_u64_e32 vcc_lo, v[6:7], v[8:9]
	v_dual_mov_b32 v9, v7 :: v_dual_mov_b32 v8, v6
	s_wait_alu 0xfffe
	s_or_b32 s6, vcc_lo, s6
	s_wait_alu 0xfffe
	s_and_not1_b32 exec_lo, exec_lo, s6
	s_cbranch_execnz .LBB6_652
.LBB6_653:
	s_wait_alu 0xfffe
	s_or_b32 exec_lo, exec_lo, s8
	s_load_b64 s[0:1], s[0:1], 0x0
	v_lshlrev_b32_e32 v0, 2, v5
	s_wait_kmcnt 0x0
	global_store_b32 v0, v2, s[0:1]
	s_endpgm
	.section	.rodata,"a",@progbits
	.p2align	6, 0x0
	.amdhsa_kernel _Z32kernel_cg_group_partition_staticILj32EEvPibS0_
		.amdhsa_group_segment_fixed_size 0
		.amdhsa_private_segment_fixed_size 0
		.amdhsa_kernarg_size 280
		.amdhsa_user_sgpr_count 2
		.amdhsa_user_sgpr_dispatch_ptr 0
		.amdhsa_user_sgpr_queue_ptr 0
		.amdhsa_user_sgpr_kernarg_segment_ptr 1
		.amdhsa_user_sgpr_dispatch_id 0
		.amdhsa_user_sgpr_private_segment_size 0
		.amdhsa_wavefront_size32 1
		.amdhsa_uses_dynamic_stack 0
		.amdhsa_enable_private_segment 0
		.amdhsa_system_sgpr_workgroup_id_x 1
		.amdhsa_system_sgpr_workgroup_id_y 0
		.amdhsa_system_sgpr_workgroup_id_z 0
		.amdhsa_system_sgpr_workgroup_info 0
		.amdhsa_system_vgpr_workitem_id 2
		.amdhsa_next_free_vgpr 37
		.amdhsa_next_free_sgpr 28
		.amdhsa_reserve_vcc 1
		.amdhsa_float_round_mode_32 0
		.amdhsa_float_round_mode_16_64 0
		.amdhsa_float_denorm_mode_32 3
		.amdhsa_float_denorm_mode_16_64 3
		.amdhsa_fp16_overflow 0
		.amdhsa_workgroup_processor_mode 1
		.amdhsa_memory_ordered 1
		.amdhsa_forward_progress 1
		.amdhsa_inst_pref_size 255
		.amdhsa_round_robin_scheduling 0
		.amdhsa_exception_fp_ieee_invalid_op 0
		.amdhsa_exception_fp_denorm_src 0
		.amdhsa_exception_fp_ieee_div_zero 0
		.amdhsa_exception_fp_ieee_overflow 0
		.amdhsa_exception_fp_ieee_underflow 0
		.amdhsa_exception_fp_ieee_inexact 0
		.amdhsa_exception_int_div_zero 0
	.end_amdhsa_kernel
	.section	.text._Z32kernel_cg_group_partition_staticILj32EEvPibS0_,"axG",@progbits,_Z32kernel_cg_group_partition_staticILj32EEvPibS0_,comdat
.Lfunc_end6:
	.size	_Z32kernel_cg_group_partition_staticILj32EEvPibS0_, .Lfunc_end6-_Z32kernel_cg_group_partition_staticILj32EEvPibS0_
                                        ; -- End function
	.set _Z32kernel_cg_group_partition_staticILj32EEvPibS0_.num_vgpr, 37
	.set _Z32kernel_cg_group_partition_staticILj32EEvPibS0_.num_agpr, 0
	.set _Z32kernel_cg_group_partition_staticILj32EEvPibS0_.numbered_sgpr, 28
	.set _Z32kernel_cg_group_partition_staticILj32EEvPibS0_.num_named_barrier, 0
	.set _Z32kernel_cg_group_partition_staticILj32EEvPibS0_.private_seg_size, 0
	.set _Z32kernel_cg_group_partition_staticILj32EEvPibS0_.uses_vcc, 1
	.set _Z32kernel_cg_group_partition_staticILj32EEvPibS0_.uses_flat_scratch, 0
	.set _Z32kernel_cg_group_partition_staticILj32EEvPibS0_.has_dyn_sized_stack, 0
	.set _Z32kernel_cg_group_partition_staticILj32EEvPibS0_.has_recursion, 0
	.set _Z32kernel_cg_group_partition_staticILj32EEvPibS0_.has_indirect_call, 0
	.section	.AMDGPU.csdata,"",@progbits
; Kernel info:
; codeLenInByte = 34508
; TotalNumSgprs: 30
; NumVgprs: 37
; ScratchSize: 0
; MemoryBound: 0
; FloatMode: 240
; IeeeMode: 1
; LDSByteSize: 0 bytes/workgroup (compile time only)
; SGPRBlocks: 0
; VGPRBlocks: 4
; NumSGPRsForWavesPerEU: 30
; NumVGPRsForWavesPerEU: 37
; Occupancy: 16
; WaveLimiterHint : 1
; COMPUTE_PGM_RSRC2:SCRATCH_EN: 0
; COMPUTE_PGM_RSRC2:USER_SGPR: 2
; COMPUTE_PGM_RSRC2:TRAP_HANDLER: 0
; COMPUTE_PGM_RSRC2:TGID_X_EN: 1
; COMPUTE_PGM_RSRC2:TGID_Y_EN: 0
; COMPUTE_PGM_RSRC2:TGID_Z_EN: 0
; COMPUTE_PGM_RSRC2:TIDIG_COMP_CNT: 2
	.text
	.p2alignl 7, 3214868480
	.fill 96, 4, 3214868480
	.section	.AMDGPU.gpr_maximums,"",@progbits
	.set amdgpu.max_num_vgpr, 0
	.set amdgpu.max_num_agpr, 0
	.set amdgpu.max_num_sgpr, 0
	.text
	.type	.str,@object                    ; @.str
	.section	.rodata.str1.1,"aMS",@progbits,1
.str:
	.asciz	"\n\n\n Sum of all ranks 0..%d in threadBlockCooperativeGroup is %d\n\n"
	.size	.str, 66

	.type	.str.1,@object                  ; @.str.1
.str.1:
	.asciz	" Creating %d groups, of tile size %d threads:\n\n"
	.size	.str.1, 48

	.type	.str.2,@object                  ; @.str.2
.str.2:
	.asciz	"   Sum of all ranks 0..%d in this tiledPartition group is %d. Corresponding parent thread rank: %d\n"
	.size	.str.2, 100

	.type	.str.3,@object                  ; @.str.3
.str.3:
	.asciz	"Outer tile %d (size=%u), inner subtile %d (size=%u) subtotal = %d\n"
	.size	.str.3, 67

	.type	.str.8,@object                  ; @.str.8
.str.8:
	.asciz	" Sum of all ranks 0..%d in threadBlockCooperativeGroup is %d (expected %d)\n\n"
	.size	.str.8, 77

	.type	.str.9,@object                  ; @.str.9
.str.9:
	.asciz	"   Sum of all ranks 0..%d in this tiledPartition group is %d. Corresponding parent thread rank: via meta_group_rank : %d and the total number of groups created when partitioned : %d\n"
	.size	.str.9, 183

	.type	__hip_cuid_8b90400af1db1bd1,@object ; @__hip_cuid_8b90400af1db1bd1
	.section	.bss,"aw",@nobits
	.globl	__hip_cuid_8b90400af1db1bd1
__hip_cuid_8b90400af1db1bd1:
	.byte	0                               ; 0x0
	.size	__hip_cuid_8b90400af1db1bd1, 1

	.ident	"AMD clang version 22.0.0git (https://github.com/RadeonOpenCompute/llvm-project roc-7.2.4 26084 f58b06dce1f9c15707c5f808fd002e18c2accf7e)"
	.section	".note.GNU-stack","",@progbits
	.addrsig
	.addrsig_sym __hip_cuid_8b90400af1db1bd1
	.amdgpu_metadata
---
amdhsa.kernels:
  - .args:
      - .offset:         0
        .size:           4
        .value_kind:     by_value
      - .address_space:  global
        .offset:         8
        .size:           8
        .value_kind:     global_buffer
      - .offset:         16
        .size:           1
        .value_kind:     by_value
      - .address_space:  global
        .offset:         24
        .size:           8
        .value_kind:     global_buffer
      - .offset:         32
        .size:           4
        .value_kind:     hidden_block_count_x
      - .offset:         36
        .size:           4
        .value_kind:     hidden_block_count_y
      - .offset:         40
        .size:           4
        .value_kind:     hidden_block_count_z
      - .offset:         44
        .size:           2
        .value_kind:     hidden_group_size_x
      - .offset:         46
        .size:           2
        .value_kind:     hidden_group_size_y
      - .offset:         48
        .size:           2
        .value_kind:     hidden_group_size_z
      - .offset:         50
        .size:           2
        .value_kind:     hidden_remainder_x
      - .offset:         52
        .size:           2
        .value_kind:     hidden_remainder_y
      - .offset:         54
        .size:           2
        .value_kind:     hidden_remainder_z
      - .offset:         72
        .size:           8
        .value_kind:     hidden_global_offset_x
      - .offset:         80
        .size:           8
        .value_kind:     hidden_global_offset_y
      - .offset:         88
        .size:           8
        .value_kind:     hidden_global_offset_z
      - .offset:         96
        .size:           2
        .value_kind:     hidden_grid_dims
      - .offset:         112
        .size:           8
        .value_kind:     hidden_hostcall_buffer
      - .offset:         152
        .size:           4
        .value_kind:     hidden_dynamic_lds_size
    .group_segment_fixed_size: 0
    .kernarg_segment_align: 8
    .kernarg_segment_size: 288
    .language:       OpenCL C
    .language_version:
      - 2
      - 0
    .max_flat_workgroup_size: 1024
    .name:           _Z33kernel_cg_group_partition_dynamicjPibS_
    .private_segment_fixed_size: 0
    .sgpr_count:     30
    .sgpr_spill_count: 0
    .symbol:         _Z33kernel_cg_group_partition_dynamicjPibS_.kd
    .uniform_work_group_size: 1
    .uses_dynamic_stack: false
    .vgpr_count:     39
    .vgpr_spill_count: 0
    .wavefront_size: 32
    .workgroup_processor_mode: 1
  - .args:
      - .offset:         0
        .size:           4
        .value_kind:     by_value
      - .offset:         4
        .size:           4
        .value_kind:     by_value
      - .address_space:  global
        .offset:         8
        .size:           8
        .value_kind:     global_buffer
      - .offset:         16
        .size:           1
        .value_kind:     by_value
      - .address_space:  global
        .offset:         24
        .size:           8
        .value_kind:     global_buffer
      - .offset:         32
        .size:           4
        .value_kind:     hidden_block_count_x
      - .offset:         36
        .size:           4
        .value_kind:     hidden_block_count_y
      - .offset:         40
        .size:           4
        .value_kind:     hidden_block_count_z
      - .offset:         44
        .size:           2
        .value_kind:     hidden_group_size_x
      - .offset:         46
        .size:           2
        .value_kind:     hidden_group_size_y
      - .offset:         48
        .size:           2
        .value_kind:     hidden_group_size_z
      - .offset:         50
        .size:           2
        .value_kind:     hidden_remainder_x
      - .offset:         52
        .size:           2
        .value_kind:     hidden_remainder_y
      - .offset:         54
        .size:           2
        .value_kind:     hidden_remainder_z
      - .offset:         72
        .size:           8
        .value_kind:     hidden_global_offset_x
      - .offset:         80
        .size:           8
        .value_kind:     hidden_global_offset_y
      - .offset:         88
        .size:           8
        .value_kind:     hidden_global_offset_z
      - .offset:         96
        .size:           2
        .value_kind:     hidden_grid_dims
      - .offset:         112
        .size:           8
        .value_kind:     hidden_hostcall_buffer
      - .offset:         152
        .size:           4
        .value_kind:     hidden_dynamic_lds_size
    .group_segment_fixed_size: 0
    .kernarg_segment_align: 8
    .kernarg_segment_size: 288
    .language:       OpenCL C
    .language_version:
      - 2
      - 0
    .max_flat_workgroup_size: 1024
    .name:           _Z32kernel_cg_group_partition_nestedjjPibS_
    .private_segment_fixed_size: 0
    .sgpr_count:     26
    .sgpr_spill_count: 0
    .symbol:         _Z32kernel_cg_group_partition_nestedjjPibS_.kd
    .uniform_work_group_size: 1
    .uses_dynamic_stack: false
    .vgpr_count:     37
    .vgpr_spill_count: 0
    .wavefront_size: 32
    .workgroup_processor_mode: 1
  - .args:
      - .address_space:  global
        .offset:         0
        .size:           8
        .value_kind:     global_buffer
      - .offset:         8
        .size:           1
        .value_kind:     by_value
      - .address_space:  global
        .offset:         16
        .size:           8
        .value_kind:     global_buffer
      - .offset:         24
        .size:           4
        .value_kind:     hidden_block_count_x
      - .offset:         28
        .size:           4
        .value_kind:     hidden_block_count_y
      - .offset:         32
        .size:           4
        .value_kind:     hidden_block_count_z
      - .offset:         36
        .size:           2
        .value_kind:     hidden_group_size_x
      - .offset:         38
        .size:           2
        .value_kind:     hidden_group_size_y
      - .offset:         40
        .size:           2
        .value_kind:     hidden_group_size_z
      - .offset:         42
        .size:           2
        .value_kind:     hidden_remainder_x
      - .offset:         44
        .size:           2
        .value_kind:     hidden_remainder_y
      - .offset:         46
        .size:           2
        .value_kind:     hidden_remainder_z
      - .offset:         64
        .size:           8
        .value_kind:     hidden_global_offset_x
      - .offset:         72
        .size:           8
        .value_kind:     hidden_global_offset_y
      - .offset:         80
        .size:           8
        .value_kind:     hidden_global_offset_z
      - .offset:         88
        .size:           2
        .value_kind:     hidden_grid_dims
      - .offset:         104
        .size:           8
        .value_kind:     hidden_hostcall_buffer
      - .offset:         144
        .size:           4
        .value_kind:     hidden_dynamic_lds_size
    .group_segment_fixed_size: 0
    .kernarg_segment_align: 8
    .kernarg_segment_size: 280
    .language:       OpenCL C
    .language_version:
      - 2
      - 0
    .max_flat_workgroup_size: 1024
    .name:           _Z32kernel_cg_group_partition_staticILj2EEvPibS0_
    .private_segment_fixed_size: 0
    .sgpr_count:     30
    .sgpr_spill_count: 0
    .symbol:         _Z32kernel_cg_group_partition_staticILj2EEvPibS0_.kd
    .uniform_work_group_size: 1
    .uses_dynamic_stack: false
    .vgpr_count:     36
    .vgpr_spill_count: 0
    .wavefront_size: 32
    .workgroup_processor_mode: 1
  - .args:
      - .address_space:  global
        .offset:         0
        .size:           8
        .value_kind:     global_buffer
      - .offset:         8
        .size:           1
        .value_kind:     by_value
      - .address_space:  global
        .offset:         16
        .size:           8
        .value_kind:     global_buffer
      - .offset:         24
        .size:           4
        .value_kind:     hidden_block_count_x
      - .offset:         28
        .size:           4
        .value_kind:     hidden_block_count_y
      - .offset:         32
        .size:           4
        .value_kind:     hidden_block_count_z
      - .offset:         36
        .size:           2
        .value_kind:     hidden_group_size_x
      - .offset:         38
        .size:           2
        .value_kind:     hidden_group_size_y
      - .offset:         40
        .size:           2
        .value_kind:     hidden_group_size_z
      - .offset:         42
        .size:           2
        .value_kind:     hidden_remainder_x
      - .offset:         44
        .size:           2
        .value_kind:     hidden_remainder_y
      - .offset:         46
        .size:           2
        .value_kind:     hidden_remainder_z
      - .offset:         64
        .size:           8
        .value_kind:     hidden_global_offset_x
      - .offset:         72
        .size:           8
        .value_kind:     hidden_global_offset_y
      - .offset:         80
        .size:           8
        .value_kind:     hidden_global_offset_z
      - .offset:         88
        .size:           2
        .value_kind:     hidden_grid_dims
      - .offset:         104
        .size:           8
        .value_kind:     hidden_hostcall_buffer
      - .offset:         144
        .size:           4
        .value_kind:     hidden_dynamic_lds_size
    .group_segment_fixed_size: 0
    .kernarg_segment_align: 8
    .kernarg_segment_size: 280
    .language:       OpenCL C
    .language_version:
      - 2
      - 0
    .max_flat_workgroup_size: 1024
    .name:           _Z32kernel_cg_group_partition_staticILj4EEvPibS0_
    .private_segment_fixed_size: 0
    .sgpr_count:     30
    .sgpr_spill_count: 0
    .symbol:         _Z32kernel_cg_group_partition_staticILj4EEvPibS0_.kd
    .uniform_work_group_size: 1
    .uses_dynamic_stack: false
    .vgpr_count:     37
    .vgpr_spill_count: 0
    .wavefront_size: 32
    .workgroup_processor_mode: 1
  - .args:
      - .address_space:  global
        .offset:         0
        .size:           8
        .value_kind:     global_buffer
      - .offset:         8
        .size:           1
        .value_kind:     by_value
      - .address_space:  global
        .offset:         16
        .size:           8
        .value_kind:     global_buffer
      - .offset:         24
        .size:           4
        .value_kind:     hidden_block_count_x
      - .offset:         28
        .size:           4
        .value_kind:     hidden_block_count_y
      - .offset:         32
        .size:           4
        .value_kind:     hidden_block_count_z
      - .offset:         36
        .size:           2
        .value_kind:     hidden_group_size_x
      - .offset:         38
        .size:           2
        .value_kind:     hidden_group_size_y
      - .offset:         40
        .size:           2
        .value_kind:     hidden_group_size_z
      - .offset:         42
        .size:           2
        .value_kind:     hidden_remainder_x
      - .offset:         44
        .size:           2
        .value_kind:     hidden_remainder_y
      - .offset:         46
        .size:           2
        .value_kind:     hidden_remainder_z
      - .offset:         64
        .size:           8
        .value_kind:     hidden_global_offset_x
      - .offset:         72
        .size:           8
        .value_kind:     hidden_global_offset_y
      - .offset:         80
        .size:           8
        .value_kind:     hidden_global_offset_z
      - .offset:         88
        .size:           2
        .value_kind:     hidden_grid_dims
      - .offset:         104
        .size:           8
        .value_kind:     hidden_hostcall_buffer
      - .offset:         144
        .size:           4
        .value_kind:     hidden_dynamic_lds_size
    .group_segment_fixed_size: 0
    .kernarg_segment_align: 8
    .kernarg_segment_size: 280
    .language:       OpenCL C
    .language_version:
      - 2
      - 0
    .max_flat_workgroup_size: 1024
    .name:           _Z32kernel_cg_group_partition_staticILj8EEvPibS0_
    .private_segment_fixed_size: 0
    .sgpr_count:     30
    .sgpr_spill_count: 0
    .symbol:         _Z32kernel_cg_group_partition_staticILj8EEvPibS0_.kd
    .uniform_work_group_size: 1
    .uses_dynamic_stack: false
    .vgpr_count:     37
    .vgpr_spill_count: 0
    .wavefront_size: 32
    .workgroup_processor_mode: 1
  - .args:
      - .address_space:  global
        .offset:         0
        .size:           8
        .value_kind:     global_buffer
      - .offset:         8
        .size:           1
        .value_kind:     by_value
      - .address_space:  global
        .offset:         16
        .size:           8
        .value_kind:     global_buffer
      - .offset:         24
        .size:           4
        .value_kind:     hidden_block_count_x
      - .offset:         28
        .size:           4
        .value_kind:     hidden_block_count_y
      - .offset:         32
        .size:           4
        .value_kind:     hidden_block_count_z
      - .offset:         36
        .size:           2
        .value_kind:     hidden_group_size_x
      - .offset:         38
        .size:           2
        .value_kind:     hidden_group_size_y
      - .offset:         40
        .size:           2
        .value_kind:     hidden_group_size_z
      - .offset:         42
        .size:           2
        .value_kind:     hidden_remainder_x
      - .offset:         44
        .size:           2
        .value_kind:     hidden_remainder_y
      - .offset:         46
        .size:           2
        .value_kind:     hidden_remainder_z
      - .offset:         64
        .size:           8
        .value_kind:     hidden_global_offset_x
      - .offset:         72
        .size:           8
        .value_kind:     hidden_global_offset_y
      - .offset:         80
        .size:           8
        .value_kind:     hidden_global_offset_z
      - .offset:         88
        .size:           2
        .value_kind:     hidden_grid_dims
      - .offset:         104
        .size:           8
        .value_kind:     hidden_hostcall_buffer
      - .offset:         144
        .size:           4
        .value_kind:     hidden_dynamic_lds_size
    .group_segment_fixed_size: 0
    .kernarg_segment_align: 8
    .kernarg_segment_size: 280
    .language:       OpenCL C
    .language_version:
      - 2
      - 0
    .max_flat_workgroup_size: 1024
    .name:           _Z32kernel_cg_group_partition_staticILj16EEvPibS0_
    .private_segment_fixed_size: 0
    .sgpr_count:     30
    .sgpr_spill_count: 0
    .symbol:         _Z32kernel_cg_group_partition_staticILj16EEvPibS0_.kd
    .uniform_work_group_size: 1
    .uses_dynamic_stack: false
    .vgpr_count:     37
    .vgpr_spill_count: 0
    .wavefront_size: 32
    .workgroup_processor_mode: 1
  - .args:
      - .address_space:  global
        .offset:         0
        .size:           8
        .value_kind:     global_buffer
      - .offset:         8
        .size:           1
        .value_kind:     by_value
      - .address_space:  global
        .offset:         16
        .size:           8
        .value_kind:     global_buffer
      - .offset:         24
        .size:           4
        .value_kind:     hidden_block_count_x
      - .offset:         28
        .size:           4
        .value_kind:     hidden_block_count_y
      - .offset:         32
        .size:           4
        .value_kind:     hidden_block_count_z
      - .offset:         36
        .size:           2
        .value_kind:     hidden_group_size_x
      - .offset:         38
        .size:           2
        .value_kind:     hidden_group_size_y
      - .offset:         40
        .size:           2
        .value_kind:     hidden_group_size_z
      - .offset:         42
        .size:           2
        .value_kind:     hidden_remainder_x
      - .offset:         44
        .size:           2
        .value_kind:     hidden_remainder_y
      - .offset:         46
        .size:           2
        .value_kind:     hidden_remainder_z
      - .offset:         64
        .size:           8
        .value_kind:     hidden_global_offset_x
      - .offset:         72
        .size:           8
        .value_kind:     hidden_global_offset_y
      - .offset:         80
        .size:           8
        .value_kind:     hidden_global_offset_z
      - .offset:         88
        .size:           2
        .value_kind:     hidden_grid_dims
      - .offset:         104
        .size:           8
        .value_kind:     hidden_hostcall_buffer
      - .offset:         144
        .size:           4
        .value_kind:     hidden_dynamic_lds_size
    .group_segment_fixed_size: 0
    .kernarg_segment_align: 8
    .kernarg_segment_size: 280
    .language:       OpenCL C
    .language_version:
      - 2
      - 0
    .max_flat_workgroup_size: 1024
    .name:           _Z32kernel_cg_group_partition_staticILj32EEvPibS0_
    .private_segment_fixed_size: 0
    .sgpr_count:     30
    .sgpr_spill_count: 0
    .symbol:         _Z32kernel_cg_group_partition_staticILj32EEvPibS0_.kd
    .uniform_work_group_size: 1
    .uses_dynamic_stack: false
    .vgpr_count:     37
    .vgpr_spill_count: 0
    .wavefront_size: 32
    .workgroup_processor_mode: 1
amdhsa.target:   amdgcn-amd-amdhsa--gfx1201
amdhsa.version:
  - 1
  - 2
...

	.end_amdgpu_metadata
